;; amdgpu-corpus repo=ROCm/rocFFT kind=compiled arch=gfx1030 opt=O3
	.text
	.amdgcn_target "amdgcn-amd-amdhsa--gfx1030"
	.amdhsa_code_object_version 6
	.protected	bluestein_single_back_len840_dim1_dp_op_CI_CI ; -- Begin function bluestein_single_back_len840_dim1_dp_op_CI_CI
	.globl	bluestein_single_back_len840_dim1_dp_op_CI_CI
	.p2align	8
	.type	bluestein_single_back_len840_dim1_dp_op_CI_CI,@function
bluestein_single_back_len840_dim1_dp_op_CI_CI: ; @bluestein_single_back_len840_dim1_dp_op_CI_CI
; %bb.0:
	s_load_dwordx4 s[8:11], s[4:5], 0x28
	v_mul_u32_u24_e32 v1, 0x493, v0
	s_mov_b64 s[30:31], s[2:3]
	s_mov_b64 s[28:29], s[0:1]
	v_mov_b32_e32 v10, 0
	s_add_u32 s28, s28, s7
	v_lshrrev_b32_e32 v1, 16, v1
	s_addc_u32 s29, s29, 0
	s_mov_b32 s0, exec_lo
	v_add_nc_u32_e32 v9, s6, v1
	s_waitcnt lgkmcnt(0)
	v_cmpx_gt_u64_e64 s[8:9], v[9:10]
	s_cbranch_execz .LBB0_39
; %bb.1:
	s_clause 0x1
	s_load_dwordx4 s[0:3], s[4:5], 0x18
	s_load_dwordx2 s[6:7], s[4:5], 0x0
	v_mul_lo_u16 v1, v1, 56
	v_sub_nc_u16 v2, v0, v1
	v_and_b32_e32 v41, 0xffff, v2
	v_lshlrev_b32_e32 v40, 4, v41
	s_waitcnt lgkmcnt(0)
	s_load_dwordx4 s[12:15], s[0:1], 0x0
	s_clause 0x2
	global_load_dwordx4 v[92:95], v40, s[6:7]
	global_load_dwordx4 v[96:99], v40, s[6:7] offset:896
	global_load_dwordx4 v[116:119], v40, s[6:7] offset:1792
	v_add_co_u32 v43, s0, s6, v40
	v_add_co_ci_u32_e64 v42, null, s7, 0, s0
	v_add_co_u32 v10, vcc_lo, 0x1800, v43
	v_add_co_ci_u32_e32 v11, vcc_lo, 0, v42, vcc_lo
	v_add_co_u32 v0, vcc_lo, 0x2000, v43
	v_add_co_ci_u32_e32 v1, vcc_lo, 0, v42, vcc_lo
	global_load_dwordx4 v[100:103], v[10:11], off offset:576
	buffer_store_dword v10, off, s[28:31], 0 offset:12 ; 4-byte Folded Spill
	buffer_store_dword v11, off, s[28:31], 0 offset:16 ; 4-byte Folded Spill
	v_add_co_u32 v3, vcc_lo, 0x800, v43
	s_waitcnt lgkmcnt(0)
	v_mad_u64_u32 v[5:6], null, s14, v9, 0
	v_mad_u64_u32 v[7:8], null, s12, v41, 0
	v_add_co_ci_u32_e32 v4, vcc_lo, 0, v42, vcc_lo
	v_add_co_u32 v52, vcc_lo, 0x2800, v43
	v_add_co_ci_u32_e32 v53, vcc_lo, 0, v42, vcc_lo
	v_add_co_u32 v48, vcc_lo, 0x1000, v43
	v_add_co_ci_u32_e32 v49, vcc_lo, 0, v42, vcc_lo
	s_mul_i32 s1, s13, 0x1a4
	s_mul_hi_u32 s7, s12, 0x1a4
	s_mul_i32 s0, s12, 0x1a4
	s_mul_hi_u32 s9, s12, 0xfffffe94
	s_add_i32 s1, s7, s1
	s_mul_i32 s8, s13, 0xfffffe94
	s_mul_i32 s6, s12, 0xfffffe94
	s_sub_i32 s7, s9, s12
	s_add_i32 s7, s7, s8
	global_load_dwordx4 v[148:151], v[10:11], off offset:1472
	v_mov_b32_e32 v10, v9
	buffer_store_dword v10, off, s[28:31], 0 offset:4 ; 4-byte Folded Spill
	buffer_store_dword v11, off, s[28:31], 0 offset:8 ; 4-byte Folded Spill
	v_mad_u64_u32 v[9:10], null, s15, v9, v[6:7]
	s_clause 0x6
	global_load_dwordx4 v[144:147], v[0:1], off offset:320
	global_load_dwordx4 v[128:131], v[0:1], off offset:1216
	;; [unrolled: 1-line block ×7, first 2 shown]
	v_mad_u64_u32 v[0:1], null, s13, v41, v[8:9]
	v_mov_b32_e32 v6, v9
	s_lshl_b64 s[12:13], s[0:1], 4
	s_lshl_b64 s[0:1], s[6:7], 4
	v_mov_b32_e32 v8, v0
	v_lshlrev_b64 v[0:1], 4, v[5:6]
	v_lshlrev_b64 v[3:4], 4, v[7:8]
	v_add_co_u32 v0, vcc_lo, s10, v0
	v_add_co_ci_u32_e32 v1, vcc_lo, s11, v1, vcc_lo
	v_add_co_u32 v0, vcc_lo, v0, v3
	v_add_co_ci_u32_e32 v1, vcc_lo, v1, v4, vcc_lo
	;; [unrolled: 2-line block ×4, first 2 shown]
	s_clause 0x1
	global_load_dwordx4 v[3:6], v[0:1], off
	global_load_dwordx4 v[7:10], v[7:8], off
	v_add_co_u32 v15, vcc_lo, v11, s12
	v_add_co_ci_u32_e32 v16, vcc_lo, s13, v12, vcc_lo
	v_add_co_u32 v19, vcc_lo, v15, s0
	v_add_co_ci_u32_e32 v20, vcc_lo, s1, v16, vcc_lo
	s_clause 0x1
	global_load_dwordx4 v[11:14], v[11:12], off
	global_load_dwordx4 v[15:18], v[15:16], off
	v_add_co_u32 v0, vcc_lo, v19, s12
	v_add_co_ci_u32_e32 v1, vcc_lo, s13, v20, vcc_lo
	global_load_dwordx4 v[19:22], v[19:20], off
	v_add_co_u32 v27, vcc_lo, v0, s0
	v_add_co_ci_u32_e32 v28, vcc_lo, s1, v1, vcc_lo
	;; [unrolled: 3-line block ×8, first 2 shown]
	v_add_co_u32 v0, vcc_lo, v64, s12
	v_add_co_ci_u32_e32 v1, vcc_lo, s13, v65, vcc_lo
	global_load_dwordx4 v[60:63], v[54:55], off
	global_load_dwordx4 v[48:51], v[48:49], off offset:1280
	global_load_dwordx4 v[64:67], v[64:65], off
	global_load_dwordx4 v[52:55], v[52:53], off offset:1856
	global_load_dwordx4 v[68:71], v[0:1], off
	v_cmp_gt_u16_e32 vcc_lo, 28, v2
	s_waitcnt vmcnt(15)
	v_mul_f64 v[72:73], v[5:6], v[94:95]
	s_waitcnt vmcnt(14)
	v_mul_f64 v[76:77], v[9:10], v[102:103]
	v_mul_f64 v[74:75], v[3:4], v[94:95]
	;; [unrolled: 1-line block ×3, first 2 shown]
	s_waitcnt vmcnt(13)
	v_mul_f64 v[80:81], v[13:14], v[98:99]
	v_mul_f64 v[82:83], v[11:12], v[98:99]
	s_waitcnt vmcnt(12)
	v_mul_f64 v[84:85], v[17:18], v[150:151]
	v_mul_f64 v[86:87], v[15:16], v[150:151]
	;; [unrolled: 3-line block ×3, first 2 shown]
	v_fma_f64 v[3:4], v[3:4], v[92:93], v[72:73]
	buffer_store_dword v92, off, s[28:31], 0 offset:20 ; 4-byte Folded Spill
	buffer_store_dword v93, off, s[28:31], 0 offset:24 ; 4-byte Folded Spill
	;; [unrolled: 1-line block ×4, first 2 shown]
	v_fma_f64 v[7:8], v[7:8], v[100:101], v[76:77]
	buffer_store_dword v100, off, s[28:31], 0 offset:196 ; 4-byte Folded Spill
	buffer_store_dword v101, off, s[28:31], 0 offset:200 ; 4-byte Folded Spill
	;; [unrolled: 1-line block ×4, first 2 shown]
	s_waitcnt vmcnt(10)
	v_mul_f64 v[72:73], v[25:26], v[146:147]
	s_waitcnt vmcnt(9)
	v_mul_f64 v[76:77], v[29:30], v[138:139]
	v_fma_f64 v[11:12], v[11:12], v[96:97], v[80:81]
	buffer_store_dword v96, off, s[28:31], 0 offset:36 ; 4-byte Folded Spill
	buffer_store_dword v97, off, s[28:31], 0 offset:40 ; 4-byte Folded Spill
	;; [unrolled: 1-line block ×4, first 2 shown]
	s_waitcnt vmcnt(8)
	v_mul_f64 v[80:81], v[33:34], v[130:131]
	v_fma_f64 v[15:16], v[15:16], v[148:149], v[84:85]
	s_waitcnt vmcnt(7)
	v_mul_f64 v[94:95], v[35:36], v[122:123]
	buffer_store_dword v148, off, s[28:31], 0 offset:180 ; 4-byte Folded Spill
	buffer_store_dword v149, off, s[28:31], 0 offset:184 ; 4-byte Folded Spill
	;; [unrolled: 1-line block ×4, first 2 shown]
	v_fma_f64 v[19:20], v[19:20], v[116:117], v[88:89]
	buffer_store_dword v116, off, s[28:31], 0 offset:52 ; 4-byte Folded Spill
	buffer_store_dword v117, off, s[28:31], 0 offset:56 ; 4-byte Folded Spill
	;; [unrolled: 1-line block ×4, first 2 shown]
	s_waitcnt vmcnt(6)
	v_mul_f64 v[98:99], v[44:45], v[134:135]
	s_waitcnt vmcnt(5)
	v_mul_f64 v[102:103], v[56:57], v[126:127]
	;; [unrolled: 2-line block ×3, first 2 shown]
	v_mul_f64 v[106:107], v[60:61], v[142:143]
	s_waitcnt vmcnt(2)
	v_mul_f64 v[108:109], v[66:67], v[50:51]
	v_mul_f64 v[110:111], v[64:65], v[50:51]
	s_waitcnt vmcnt(0)
	v_mul_f64 v[112:113], v[70:71], v[54:55]
	v_mul_f64 v[114:115], v[68:69], v[54:55]
	v_fma_f64 v[60:61], v[60:61], v[140:141], v[104:105]
	v_fma_f64 v[64:65], v[64:65], v[48:49], v[108:109]
	;; [unrolled: 1-line block ×3, first 2 shown]
	v_fma_f64 v[70:71], v[70:71], v[52:53], -v[114:115]
	v_fma_f64 v[5:6], v[5:6], v[92:93], -v[74:75]
	v_mul_f64 v[92:93], v[37:38], v[122:123]
	v_fma_f64 v[9:10], v[9:10], v[100:101], -v[78:79]
	v_mul_f64 v[100:101], v[58:59], v[126:127]
	v_mul_f64 v[74:75], v[23:24], v[146:147]
	;; [unrolled: 1-line block ×3, first 2 shown]
	v_fma_f64 v[23:24], v[23:24], v[144:145], v[72:73]
	buffer_store_dword v144, off, s[28:31], 0 offset:164 ; 4-byte Folded Spill
	buffer_store_dword v145, off, s[28:31], 0 offset:168 ; 4-byte Folded Spill
	;; [unrolled: 1-line block ×4, first 2 shown]
	v_fma_f64 v[27:28], v[27:28], v[136:137], v[76:77]
	buffer_store_dword v136, off, s[28:31], 0 offset:132 ; 4-byte Folded Spill
	buffer_store_dword v137, off, s[28:31], 0 offset:136 ; 4-byte Folded Spill
	;; [unrolled: 1-line block ×4, first 2 shown]
	v_fma_f64 v[13:14], v[13:14], v[96:97], -v[82:83]
	v_mul_f64 v[96:97], v[46:47], v[134:135]
	v_mul_f64 v[82:83], v[31:32], v[130:131]
	v_fma_f64 v[31:32], v[31:32], v[128:129], v[80:81]
	buffer_store_dword v128, off, s[28:31], 0 offset:100 ; 4-byte Folded Spill
	buffer_store_dword v129, off, s[28:31], 0 offset:104 ; 4-byte Folded Spill
	;; [unrolled: 1-line block ×4, first 2 shown]
	v_fma_f64 v[17:18], v[17:18], v[148:149], -v[86:87]
	v_fma_f64 v[21:22], v[21:22], v[116:117], -v[90:91]
	v_fma_f64 v[35:36], v[35:36], v[120:121], v[92:93]
	buffer_store_dword v120, off, s[28:31], 0 offset:68 ; 4-byte Folded Spill
	buffer_store_dword v121, off, s[28:31], 0 offset:72 ; 4-byte Folded Spill
	;; [unrolled: 1-line block ×4, first 2 shown]
	v_fma_f64 v[56:57], v[56:57], v[124:125], v[100:101]
	v_fma_f64 v[44:45], v[44:45], v[132:133], v[96:97]
	buffer_store_dword v132, off, s[28:31], 0 offset:116 ; 4-byte Folded Spill
	buffer_store_dword v133, off, s[28:31], 0 offset:120 ; 4-byte Folded Spill
	;; [unrolled: 1-line block ×16, first 2 shown]
	s_load_dwordx2 s[6:7], s[4:5], 0x38
	s_load_dwordx4 s[8:11], s[2:3], 0x0
	v_fma_f64 v[25:26], v[25:26], v[144:145], -v[74:75]
	v_fma_f64 v[29:30], v[29:30], v[136:137], -v[78:79]
	;; [unrolled: 1-line block ×8, first 2 shown]
	ds_write_b128 v40, v[3:6]
	ds_write_b128 v40, v[7:10] offset:6720
	ds_write_b128 v40, v[11:14] offset:896
	;; [unrolled: 1-line block ×13, first 2 shown]
	s_and_saveexec_b32 s2, vcc_lo
	s_cbranch_execz .LBB0_3
; %bb.2:
	v_add_co_u32 v0, s0, v0, s0
	v_add_co_ci_u32_e64 v1, s0, s1, v1, s0
	v_add_co_u32 v8, s0, 0x3000, v43
	v_add_co_ci_u32_e64 v9, s0, 0, v42, s0
	;; [unrolled: 2-line block ×3, first 2 shown]
	global_load_dwordx4 v[0:3], v[0:1], off
	s_clause 0x1
	buffer_load_dword v4, off, s[28:31], 0 offset:12
	buffer_load_dword v5, off, s[28:31], 0 offset:16
	s_waitcnt vmcnt(0)
	s_clause 0x1
	global_load_dwordx4 v[4:7], v[4:5], off offset:128
	global_load_dwordx4 v[8:11], v[8:9], off offset:704
	global_load_dwordx4 v[12:15], v[12:13], off
	s_waitcnt vmcnt(2)
	v_mul_f64 v[16:17], v[2:3], v[6:7]
	v_mul_f64 v[6:7], v[0:1], v[6:7]
	s_waitcnt vmcnt(0)
	v_mul_f64 v[18:19], v[14:15], v[10:11]
	v_mul_f64 v[10:11], v[12:13], v[10:11]
	v_fma_f64 v[0:1], v[0:1], v[4:5], v[16:17]
	v_fma_f64 v[2:3], v[2:3], v[4:5], -v[6:7]
	v_fma_f64 v[4:5], v[12:13], v[8:9], v[18:19]
	v_fma_f64 v[6:7], v[14:15], v[8:9], -v[10:11]
	ds_write_b128 v40, v[0:3] offset:6272
	ds_write_b128 v40, v[4:7] offset:12992
.LBB0_3:
	s_or_b32 exec_lo, exec_lo, s2
	s_waitcnt lgkmcnt(0)
	s_waitcnt_vscnt null, 0x0
	s_barrier
	buffer_gl0_inv
	ds_read_b128 v[4:7], v40
	ds_read_b128 v[0:3], v40 offset:896
	ds_read_b128 v[92:95], v40 offset:7616
	;; [unrolled: 1-line block ×13, first 2 shown]
                                        ; implicit-def: $vgpr68_vgpr69
                                        ; implicit-def: $vgpr72_vgpr73
	s_and_saveexec_b32 s0, vcc_lo
	s_cbranch_execz .LBB0_5
; %bb.4:
	ds_read_b128 v[68:71], v40 offset:6272
	ds_read_b128 v[72:75], v40 offset:12992
.LBB0_5:
	s_or_b32 exec_lo, exec_lo, s0
	s_waitcnt lgkmcnt(3)
	v_add_f64 v[25:26], v[4:5], -v[96:97]
	v_add_f64 v[27:28], v[6:7], -v[98:99]
	;; [unrolled: 1-line block ×10, first 2 shown]
	s_waitcnt lgkmcnt(1)
	v_add_f64 v[76:77], v[56:57], -v[76:77]
	v_add_f64 v[78:79], v[58:59], -v[78:79]
	s_waitcnt lgkmcnt(0)
	v_add_f64 v[84:85], v[64:65], -v[12:13]
	v_add_f64 v[86:87], v[66:67], -v[14:15]
	;; [unrolled: 1-line block ×4, first 2 shown]
	v_add_co_u32 v21, s0, v41, 56
	s_load_dwordx2 s[2:3], s[4:5], 0x8
	v_add_co_ci_u32_e64 v20, null, 0, 0, s0
	v_add_co_u32 v20, s0, 0x70, v41
	v_fma_f64 v[4:5], v[4:5], 2.0, -v[25:26]
	v_fma_f64 v[6:7], v[6:7], 2.0, -v[27:28]
	;; [unrolled: 1-line block ×16, first 2 shown]
	v_add_co_ci_u32_e64 v22, null, 0, 0, s0
	v_add_co_u32 v22, null, 0xa8, v41
	v_add_co_u32 v23, null, 0xe0, v41
	v_lshlrev_b32_e32 v24, 1, v41
	v_lshlrev_b32_e32 v29, 5, v41
	v_add_co_u32 v31, null, 0x188, v41
	s_waitcnt lgkmcnt(0)
	s_barrier
	buffer_gl0_inv
	v_lshlrev_b32_e32 v30, 5, v21
	ds_write_b128 v29, v[4:7]
	ds_write_b128 v29, v[25:28] offset:16
	v_lshlrev_b32_e32 v4, 5, v20
	v_lshlrev_b32_e32 v5, 5, v22
	;; [unrolled: 1-line block ×3, first 2 shown]
	v_add_nc_u32_e32 v25, 0x230, v24
	v_add_nc_u32_e32 v26, 0x2a0, v24
	v_lshlrev_b32_e32 v27, 1, v21
	ds_write_b128 v30, v[72:75]
	buffer_store_dword v30, off, s[28:31], 0 offset:228 ; 4-byte Folded Spill
	ds_write_b128 v30, v[32:35] offset:16
	v_lshlrev_b32_e32 v30, 1, v20
	ds_write_b128 v4, v[16:19]
	buffer_store_dword v4, off, s[28:31], 0 offset:232 ; 4-byte Folded Spill
	ds_write_b128 v4, v[36:39] offset:16
	;; [unrolled: 4-line block ×3, first 2 shown]
	v_lshlrev_b32_e32 v28, 1, v23
	ds_write_b128 v6, v[60:63]
	v_lshlrev_b32_e32 v4, 4, v24
	v_lshlrev_b32_e32 v7, 4, v25
	buffer_store_dword v6, off, s[28:31], 0 offset:240 ; 4-byte Folded Spill
	ds_write_b128 v6, v[80:83] offset:16
	v_lshlrev_b32_e32 v6, 4, v26
	v_lshlrev_b32_e32 v5, 5, v31
	ds_write_b128 v4, v[56:59] offset:8960
	buffer_store_dword v7, off, s[28:31], 0 offset:248 ; 4-byte Folded Spill
	buffer_store_dword v5, off, s[28:31], 0 offset:324 ; 4-byte Folded Spill
	ds_write_b128 v7, v[76:79] offset:16
	ds_write_b128 v4, v[64:67] offset:10752
	buffer_store_dword v6, off, s[28:31], 0 offset:244 ; 4-byte Folded Spill
	ds_write_b128 v6, v[84:87] offset:16
	s_and_saveexec_b32 s0, vcc_lo
	s_cbranch_execz .LBB0_7
; %bb.6:
	v_lshlrev_b32_e32 v4, 5, v31
	ds_write_b128 v4, v[0:3]
	ds_write_b128 v4, v[12:15] offset:16
.LBB0_7:
	s_or_b32 exec_lo, exec_lo, s0
	s_waitcnt lgkmcnt(0)
	s_waitcnt_vscnt null, 0x0
	s_barrier
	buffer_gl0_inv
	ds_read_b128 v[4:7], v40
	ds_read_b128 v[8:11], v40 offset:896
	ds_read_b128 v[72:75], v40 offset:7616
	;; [unrolled: 1-line block ×13, first 2 shown]
	s_and_saveexec_b32 s0, vcc_lo
	s_cbranch_execz .LBB0_9
; %bb.8:
	ds_read_b128 v[0:3], v40 offset:6272
	ds_read_b128 v[12:15], v40 offset:12992
.LBB0_9:
	s_or_b32 exec_lo, exec_lo, s0
	v_and_b32_e32 v124, 1, v41
	v_lshlrev_b32_e32 v31, 1, v31
	v_lshlrev_b32_e32 v32, 4, v124
	buffer_store_dword v31, off, s[28:31], 0 ; 4-byte Folded Spill
	v_and_or_b32 v48, 0x7c, v24, v124
	v_and_or_b32 v49, 0xfc, v27, v124
	;; [unrolled: 1-line block ×3, first 2 shown]
	global_load_dwordx4 v[80:83], v32, s[2:3]
	v_and_or_b32 v51, 0x1fc, v29, v124
	s_waitcnt vmcnt(0) lgkmcnt(0)
	s_waitcnt_vscnt null, 0x0
	s_barrier
	buffer_gl0_inv
	v_mul_f64 v[32:33], v[102:103], v[82:83]
	v_mul_f64 v[34:35], v[100:101], v[82:83]
	;; [unrolled: 1-line block ×16, first 2 shown]
	v_fma_f64 v[32:33], v[100:101], v[80:81], -v[32:33]
	v_fma_f64 v[34:35], v[102:103], v[80:81], v[34:35]
	v_fma_f64 v[12:13], v[12:13], v[80:81], -v[120:121]
	v_fma_f64 v[14:15], v[14:15], v[80:81], v[122:123]
	;; [unrolled: 2-line block ×8, first 2 shown]
	v_and_or_b32 v92, 0x2fc, v25, v124
	v_and_or_b32 v93, 0x3fc, v26, v124
	v_lshlrev_b32_e32 v96, 4, v48
	v_lshlrev_b32_e32 v95, 4, v49
	;; [unrolled: 1-line block ×4, first 2 shown]
	v_add_f64 v[31:32], v[4:5], -v[32:33]
	v_add_f64 v[33:34], v[6:7], -v[34:35]
	;; [unrolled: 1-line block ×16, first 2 shown]
	v_and_or_b32 v39, 0x3fc, v28, v124
	v_lshlrev_b32_e32 v48, 4, v92
	buffer_store_dword v96, off, s[28:31], 0 offset:296 ; 4-byte Folded Spill
	v_lshlrev_b32_e32 v49, 4, v39
	v_fma_f64 v[4:5], v[4:5], 2.0, -v[31:32]
	v_fma_f64 v[6:7], v[6:7], 2.0, -v[33:34]
	;; [unrolled: 1-line block ×16, first 2 shown]
	v_lshlrev_b32_e32 v39, 4, v93
	ds_write_b128 v96, v[31:34] offset:32
	ds_write_b128 v96, v[4:7]
	ds_write_b128 v95, v[8:11]
	buffer_store_dword v95, off, s[28:31], 0 offset:284 ; 4-byte Folded Spill
	ds_write_b128 v95, v[35:38] offset:32
	ds_write_b128 v94, v[56:59]
	buffer_store_dword v94, off, s[28:31], 0 offset:276 ; 4-byte Folded Spill
	ds_write_b128 v94, v[44:47] offset:32
	;; [unrolled: 3-line block ×6, first 2 shown]
	s_and_saveexec_b32 s0, vcc_lo
	s_cbranch_execz .LBB0_11
; %bb.10:
	buffer_load_dword v4, off, s[28:31], 0  ; 4-byte Folded Reload
	v_and_b32_e32 v5, 1, v41
	s_waitcnt vmcnt(0)
	v_and_or_b32 v4, 0x37c, v4, v5
	v_lshlrev_b32_e32 v4, 4, v4
	ds_write_b128 v4, v[0:3]
	ds_write_b128 v4, v[12:15] offset:32
.LBB0_11:
	s_or_b32 exec_lo, exec_lo, s0
	s_waitcnt lgkmcnt(0)
	s_waitcnt_vscnt null, 0x0
	s_barrier
	buffer_gl0_inv
	ds_read_b128 v[4:7], v40
	ds_read_b128 v[8:11], v40 offset:896
	ds_read_b128 v[72:75], v40 offset:7616
	ds_read_b128 v[84:87], v40 offset:8512
	ds_read_b128 v[56:59], v40 offset:1792
	ds_read_b128 v[16:19], v40 offset:2688
	ds_read_b128 v[88:91], v40 offset:9408
	ds_read_b128 v[92:95], v40 offset:10304
	ds_read_b128 v[64:67], v40 offset:3584
	ds_read_b128 v[60:63], v40 offset:4480
	ds_read_b128 v[104:107], v40 offset:6720
	ds_read_b128 v[68:71], v40 offset:5376
	ds_read_b128 v[100:103], v40 offset:11200
	ds_read_b128 v[96:99], v40 offset:12096
	s_and_saveexec_b32 s0, vcc_lo
	s_cbranch_execz .LBB0_13
; %bb.12:
	ds_read_b128 v[0:3], v40 offset:6272
	ds_read_b128 v[12:15], v40 offset:12992
.LBB0_13:
	s_or_b32 exec_lo, exec_lo, s0
	v_and_b32_e32 v124, 3, v41
	v_lshlrev_b32_e32 v31, 4, v124
	v_and_or_b32 v49, 0x1f8, v30, v124
	v_and_or_b32 v50, 0x1f8, v29, v124
	;; [unrolled: 1-line block ×4, first 2 shown]
	global_load_dwordx4 v[76:79], v31, s[2:3] offset:32
	v_and_or_b32 v51, 0x2f8, v25, v124
	v_and_or_b32 v28, 0x3f8, v28, v124
	s_waitcnt vmcnt(0) lgkmcnt(0)
	v_lshlrev_b32_e32 v48, 4, v48
	s_barrier
	buffer_gl0_inv
	v_mul_f64 v[31:32], v[106:107], v[78:79]
	v_mul_f64 v[33:34], v[104:105], v[78:79]
	;; [unrolled: 1-line block ×14, first 2 shown]
	v_fma_f64 v[31:32], v[104:105], v[76:77], -v[31:32]
	v_fma_f64 v[33:34], v[106:107], v[76:77], v[33:34]
	v_fma_f64 v[35:36], v[72:73], v[76:77], -v[35:36]
	v_fma_f64 v[37:38], v[74:75], v[76:77], v[37:38]
	;; [unrolled: 2-line block ×5, first 2 shown]
	v_mul_f64 v[96:97], v[14:15], v[78:79]
	v_mul_f64 v[98:99], v[12:13], v[78:79]
	v_fma_f64 v[72:73], v[88:89], v[76:77], -v[108:109]
	v_fma_f64 v[74:75], v[90:91], v[76:77], v[110:111]
	v_fma_f64 v[88:89], v[100:101], v[76:77], -v[116:117]
	v_fma_f64 v[90:91], v[102:103], v[76:77], v[118:119]
	v_add_f64 v[29:30], v[4:5], -v[31:32]
	v_add_f64 v[31:32], v[6:7], -v[33:34]
	;; [unrolled: 1-line block ×10, first 2 shown]
	v_fma_f64 v[37:38], v[12:13], v[76:77], -v[96:97]
	v_fma_f64 v[96:97], v[14:15], v[76:77], v[98:99]
	v_add_f64 v[72:73], v[16:17], -v[72:73]
	v_add_f64 v[74:75], v[18:19], -v[74:75]
	v_add_f64 v[88:89], v[60:61], -v[88:89]
	v_add_f64 v[90:91], v[62:63], -v[90:91]
	v_and_or_b32 v98, 0x3f8, v26, v124
	v_fma_f64 v[4:5], v[4:5], 2.0, -v[29:30]
	v_fma_f64 v[6:7], v[6:7], 2.0, -v[31:32]
	;; [unrolled: 1-line block ×8, first 2 shown]
	v_lshlrev_b32_e32 v64, 4, v39
	v_lshlrev_b32_e32 v39, 4, v49
	v_add_f64 v[136:137], v[0:1], -v[37:38]
	v_add_f64 v[138:139], v[2:3], -v[96:97]
	v_fma_f64 v[16:17], v[16:17], 2.0, -v[72:73]
	v_fma_f64 v[18:19], v[18:19], 2.0, -v[74:75]
	;; [unrolled: 1-line block ×6, first 2 shown]
	v_lshlrev_b32_e32 v38, 4, v50
	v_lshlrev_b32_e32 v37, 4, v28
	;; [unrolled: 1-line block ×4, first 2 shown]
	ds_write_b128 v64, v[29:32] offset:64
	buffer_store_dword v64, off, s[28:31], 0 offset:300 ; 4-byte Folded Spill
	ds_write_b128 v64, v[4:7]
	ds_write_b128 v48, v[8:11]
	buffer_store_dword v48, off, s[28:31], 0 offset:292 ; 4-byte Folded Spill
	ds_write_b128 v48, v[33:36] offset:64
	ds_write_b128 v39, v[12:15]
	buffer_store_dword v39, off, s[28:31], 0 offset:288 ; 4-byte Folded Spill
	ds_write_b128 v39, v[44:47] offset:64
	;; [unrolled: 3-line block ×5, first 2 shown]
	ds_write_b128 v51, v[60:63]
	ds_write_b128 v51, v[92:95] offset:64
	s_and_saveexec_b32 s0, vcc_lo
	s_cbranch_execz .LBB0_15
; %bb.14:
	buffer_load_dword v4, off, s[28:31], 0  ; 4-byte Folded Reload
	v_fma_f64 v[2:3], v[2:3], 2.0, -v[138:139]
	v_fma_f64 v[0:1], v[0:1], 2.0, -v[136:137]
	v_and_b32_e32 v5, 3, v41
	s_waitcnt vmcnt(0)
	v_and_or_b32 v4, 0x378, v4, v5
	v_lshlrev_b32_e32 v4, 4, v4
	ds_write_b128 v4, v[0:3]
	ds_write_b128 v4, v[136:139] offset:64
.LBB0_15:
	s_or_b32 exec_lo, exec_lo, s0
	v_and_b32_e32 v0, 7, v41
	s_waitcnt lgkmcnt(0)
	s_waitcnt_vscnt null, 0x0
	s_barrier
	buffer_gl0_inv
	s_mov_b32 s0, 0xe8584caa
	v_lshlrev_b32_e32 v1, 5, v0
	s_mov_b32 s1, 0x3febb67a
	s_mov_b32 s5, 0xbfebb67a
	;; [unrolled: 1-line block ×4, first 2 shown]
	s_clause 0x1
	global_load_dwordx4 v[72:75], v1, s[2:3] offset:96
	global_load_dwordx4 v[68:71], v1, s[2:3] offset:112
	ds_read_b128 v[1:4], v40 offset:4480
	ds_read_b128 v[5:8], v40 offset:8960
	;; [unrolled: 1-line block ×11, first 2 shown]
	s_mov_b32 s15, 0x3fee6f0e
	s_mov_b32 s13, 0xbfee6f0e
	s_mov_b32 s12, s14
	s_mov_b32 s16, 0x372fe950
	s_mov_b32 s17, 0x3fd3c6ef
	s_waitcnt vmcnt(1) lgkmcnt(10)
	v_mul_f64 v[17:18], v[3:4], v[74:75]
	v_mul_f64 v[64:65], v[1:2], v[74:75]
	s_waitcnt vmcnt(0) lgkmcnt(9)
	v_mul_f64 v[66:67], v[7:8], v[70:71]
	v_mul_f64 v[84:85], v[5:6], v[70:71]
	s_waitcnt lgkmcnt(8)
	v_mul_f64 v[86:87], v[11:12], v[74:75]
	v_mul_f64 v[88:89], v[9:10], v[74:75]
	s_waitcnt lgkmcnt(7)
	v_mul_f64 v[90:91], v[15:16], v[70:71]
	v_mul_f64 v[92:93], v[13:14], v[70:71]
	v_fma_f64 v[17:18], v[1:2], v[72:73], -v[17:18]
	v_fma_f64 v[64:65], v[3:4], v[72:73], v[64:65]
	s_waitcnt lgkmcnt(5)
	v_mul_f64 v[1:2], v[30:31], v[74:75]
	v_mul_f64 v[3:4], v[28:29], v[74:75]
	v_fma_f64 v[66:67], v[5:6], v[68:69], -v[66:67]
	v_fma_f64 v[84:85], v[7:8], v[68:69], v[84:85]
	;; [unrolled: 5-line block ×3, first 2 shown]
	v_mul_f64 v[86:87], v[38:39], v[74:75]
	v_mul_f64 v[88:89], v[36:37], v[74:75]
	v_fma_f64 v[13:14], v[13:14], v[68:69], -v[90:91]
	v_fma_f64 v[15:16], v[15:16], v[68:69], v[92:93]
	s_waitcnt lgkmcnt(2)
	v_mul_f64 v[90:91], v[46:47], v[70:71]
	v_mul_f64 v[92:93], v[44:45], v[70:71]
	v_fma_f64 v[94:95], v[28:29], v[72:73], -v[1:2]
	v_fma_f64 v[96:97], v[30:31], v[72:73], v[3:4]
	s_waitcnt lgkmcnt(1)
	;; [unrolled: 5-line block ×3, first 2 shown]
	v_mul_f64 v[32:33], v[62:63], v[70:71]
	v_mul_f64 v[34:35], v[60:61], v[70:71]
	v_fma_f64 v[86:87], v[36:37], v[72:73], -v[86:87]
	v_fma_f64 v[88:89], v[38:39], v[72:73], v[88:89]
	v_add_f64 v[36:37], v[17:18], v[66:67]
	v_add_f64 v[38:39], v[64:65], v[84:85]
	ds_read_b128 v[1:4], v40
	ds_read_b128 v[5:8], v40 offset:896
	v_fma_f64 v[90:91], v[44:45], v[68:69], -v[90:91]
	v_fma_f64 v[92:93], v[46:47], v[68:69], v[92:93]
	v_add_f64 v[44:45], v[64:65], -v[84:85]
	v_add_f64 v[46:47], v[11:12], -v[15:16]
	v_fma_f64 v[102:103], v[56:57], v[72:73], -v[28:29]
	v_fma_f64 v[104:105], v[58:59], v[72:73], v[30:31]
	v_add_f64 v[56:57], v[9:10], -v[13:14]
	v_add_f64 v[58:59], v[94:95], v[98:99]
	v_fma_f64 v[106:107], v[60:61], v[68:69], -v[32:33]
	v_fma_f64 v[108:109], v[62:63], v[68:69], v[34:35]
	v_add_f64 v[62:63], v[96:97], -v[100:101]
	s_waitcnt lgkmcnt(1)
	v_add_f64 v[28:29], v[3:4], v[64:65]
	v_add_f64 v[30:31], v[1:2], v[17:18]
	v_fma_f64 v[32:33], v[36:37], -0.5, v[1:2]
	v_fma_f64 v[34:35], v[38:39], -0.5, v[3:4]
	v_add_f64 v[1:2], v[9:10], v[13:14]
	v_add_f64 v[3:4], v[11:12], v[15:16]
	v_add_f64 v[17:18], v[17:18], -v[66:67]
	s_waitcnt lgkmcnt(0)
	v_fma_f64 v[36:37], v[1:2], -0.5, v[5:6]
	v_fma_f64 v[38:39], v[3:4], -0.5, v[7:8]
	v_add_f64 v[7:8], v[7:8], v[11:12]
	v_add_f64 v[5:6], v[5:6], v[9:10]
	;; [unrolled: 1-line block ×3, first 2 shown]
	v_fma_f64 v[9:10], v[44:45], s[0:1], v[32:33]
	v_fma_f64 v[28:29], v[44:45], s[4:5], v[32:33]
	v_add_f64 v[1:2], v[30:31], v[66:67]
	v_fma_f64 v[11:12], v[17:18], s[4:5], v[34:35]
	v_fma_f64 v[30:31], v[17:18], s[0:1], v[34:35]
	;; [unrolled: 1-line block ×4, first 2 shown]
	v_add_f64 v[7:8], v[7:8], v[15:16]
	v_add_f64 v[5:6], v[5:6], v[13:14]
	ds_read_b128 v[13:16], v40 offset:1792
	ds_read_b128 v[44:47], v40 offset:2688
	v_fma_f64 v[34:35], v[56:57], s[4:5], v[38:39]
	v_fma_f64 v[38:39], v[56:57], s[0:1], v[38:39]
	v_add_f64 v[56:57], v[96:97], v[100:101]
	s_waitcnt lgkmcnt(0)
	s_barrier
	buffer_gl0_inv
	v_fma_f64 v[17:18], v[58:59], -0.5, v[13:14]
	v_add_f64 v[13:14], v[13:14], v[94:95]
	v_fma_f64 v[66:67], v[56:57], -0.5, v[15:16]
	v_add_f64 v[15:16], v[15:16], v[96:97]
	v_fma_f64 v[60:61], v[62:63], s[0:1], v[17:18]
	v_add_f64 v[56:57], v[13:14], v[98:99]
	v_add_f64 v[13:14], v[94:95], -v[98:99]
	v_fma_f64 v[64:65], v[62:63], s[4:5], v[17:18]
	v_add_f64 v[17:18], v[46:47], v[88:89]
	v_add_f64 v[94:95], v[104:105], -v[108:109]
	v_add_f64 v[58:59], v[15:16], v[100:101]
	v_add_f64 v[15:16], v[88:89], v[92:93]
	v_add_f64 v[88:89], v[88:89], -v[92:93]
	v_fma_f64 v[62:63], v[13:14], s[4:5], v[66:67]
	v_fma_f64 v[66:67], v[13:14], s[0:1], v[66:67]
	v_add_f64 v[13:14], v[86:87], v[90:91]
	v_fma_f64 v[15:16], v[15:16], -0.5, v[46:47]
	v_add_f64 v[46:47], v[17:18], v[92:93]
	v_add_f64 v[17:18], v[86:87], -v[90:91]
	v_fma_f64 v[13:14], v[13:14], -0.5, v[44:45]
	v_add_f64 v[44:45], v[44:45], v[86:87]
	v_fma_f64 v[86:87], v[17:18], s[4:5], v[15:16]
	v_fma_f64 v[84:85], v[88:89], s[0:1], v[13:14]
	;; [unrolled: 1-line block ×3, first 2 shown]
	v_add_f64 v[13:14], v[102:103], v[106:107]
	v_add_f64 v[44:45], v[44:45], v[90:91]
	v_fma_f64 v[90:91], v[17:18], s[0:1], v[15:16]
	v_add_f64 v[15:16], v[104:105], v[108:109]
	v_add_f64 v[17:18], v[26:27], v[104:105]
	v_fma_f64 v[13:14], v[13:14], -0.5, v[24:25]
	v_add_f64 v[24:25], v[24:25], v[102:103]
	v_fma_f64 v[15:16], v[15:16], -0.5, v[26:27]
	v_add_f64 v[26:27], v[17:18], v[108:109]
	v_add_f64 v[17:18], v[102:103], -v[106:107]
	v_fma_f64 v[92:93], v[94:95], s[0:1], v[13:14]
	v_fma_f64 v[96:97], v[94:95], s[4:5], v[13:14]
	v_lshrrev_b32_e32 v13, 3, v41
	v_add_f64 v[24:25], v[24:25], v[106:107]
	v_fma_f64 v[94:95], v[17:18], s[4:5], v[15:16]
	v_fma_f64 v[98:99], v[17:18], s[0:1], v[15:16]
	v_mul_u32_u24_e32 v13, 24, v13
	s_mov_b32 s0, 0x4755a5e
	s_mov_b32 s1, 0x3fe2cf23
	;; [unrolled: 1-line block ×4, first 2 shown]
	v_or_b32_e32 v13, v13, v0
	v_lshlrev_b32_e32 v14, 4, v13
	ds_write_b128 v14, v[1:4]
	v_and_b32_e32 v1, 0xff, v41
	v_lshrrev_b32_e32 v2, 3, v20
	v_lshrrev_b32_e32 v3, 3, v22
	;; [unrolled: 1-line block ×3, first 2 shown]
	ds_write_b128 v14, v[9:12] offset:128
	v_mul_lo_u16 v1, 0xab, v1
	v_mul_u32_u24_e32 v2, 24, v2
	v_mul_u32_u24_e32 v3, 24, v3
	;; [unrolled: 1-line block ×3, first 2 shown]
	buffer_store_dword v14, off, s[28:31], 0 offset:304 ; 4-byte Folded Spill
	v_lshrrev_b16 v16, 12, v1
	v_lshrrev_b32_e32 v1, 3, v21
	v_or_b32_e32 v2, v2, v0
	v_or_b32_e32 v3, v3, v0
	v_mul_lo_u16 v13, v16, 24
	v_mul_u32_u24_e32 v1, 24, v1
	v_sub_nc_u16 v13, v41, v13
	v_or_b32_e32 v1, v1, v0
	v_or_b32_e32 v0, v4, v0
	v_lshlrev_b32_e32 v4, 4, v2
	v_lshlrev_b32_e32 v2, 4, v3
	v_and_b32_e32 v17, 0xff, v13
	v_lshlrev_b32_e32 v13, 4, v1
	v_lshlrev_b32_e32 v1, 4, v0
	ds_write_b128 v14, v[28:31] offset:256
	ds_write_b128 v13, v[5:8]
	ds_write_b128 v13, v[32:35] offset:128
	v_lshlrev_b32_e32 v0, 6, v17
	buffer_store_dword v13, off, s[28:31], 0 offset:320 ; 4-byte Folded Spill
	ds_write_b128 v13, v[36:39] offset:256
	ds_write_b128 v4, v[56:59]
	ds_write_b128 v4, v[60:63] offset:128
	buffer_store_dword v4, off, s[28:31], 0 offset:316 ; 4-byte Folded Spill
	ds_write_b128 v4, v[64:67] offset:256
	ds_write_b128 v2, v[44:47]
	ds_write_b128 v2, v[84:87] offset:128
	;; [unrolled: 4-line block ×3, first 2 shown]
	buffer_store_dword v1, off, s[28:31], 0 offset:308 ; 4-byte Folded Spill
	ds_write_b128 v1, v[96:99] offset:256
	s_waitcnt lgkmcnt(0)
	s_waitcnt_vscnt null, 0x0
	s_barrier
	buffer_gl0_inv
	s_clause 0x3
	global_load_dwordx4 v[60:63], v0, s[2:3] offset:352
	global_load_dwordx4 v[84:87], v0, s[2:3] offset:368
	;; [unrolled: 1-line block ×4, first 2 shown]
	v_and_b32_e32 v8, 0xff, v21
	ds_read_b128 v[4:7], v40 offset:2688
	ds_read_b128 v[0:3], v40 offset:5376
	v_mul_lo_u16 v12, 0xab, v8
	ds_read_b128 v[8:11], v40 offset:8064
	ds_read_b128 v[22:25], v40 offset:1792
	;; [unrolled: 1-line block ×4, first 2 shown]
	v_lshrrev_b16 v19, 12, v12
	v_mul_lo_u16 v12, v19, 24
	v_sub_nc_u16 v18, v21, v12
	ds_read_b128 v[12:15], v40 offset:7168
	v_and_b32_e32 v48, 0xff, v18
	v_lshlrev_b32_e32 v18, 6, v48
	s_waitcnt vmcnt(3) lgkmcnt(6)
	v_mul_f64 v[34:35], v[6:7], v[62:63]
	v_mul_f64 v[36:37], v[4:5], v[62:63]
	s_waitcnt vmcnt(1) lgkmcnt(4)
	v_mul_f64 v[88:89], v[8:9], v[66:67]
	v_mul_f64 v[38:39], v[2:3], v[86:87]
	;; [unrolled: 1-line block ×4, first 2 shown]
	v_fma_f64 v[34:35], v[4:5], v[60:61], -v[34:35]
	v_fma_f64 v[36:37], v[6:7], v[60:61], v[36:37]
	ds_read_b128 v[4:7], v40 offset:11648
	v_fma_f64 v[120:121], v[10:11], v[64:65], v[88:89]
	s_clause 0x1
	global_load_dwordx4 v[96:99], v18, s[2:3] offset:352
	global_load_dwordx4 v[88:91], v18, s[2:3] offset:368
	v_fma_f64 v[38:39], v[0:1], v[84:85], -v[38:39]
	v_fma_f64 v[44:45], v[2:3], v[84:85], v[44:45]
	s_waitcnt vmcnt(2) lgkmcnt(2)
	v_mul_f64 v[0:1], v[32:33], v[58:59]
	v_mul_f64 v[2:3], v[30:31], v[58:59]
	v_fma_f64 v[46:47], v[8:9], v[64:65], -v[46:47]
	v_add_f64 v[166:167], v[38:39], -v[34:35]
	v_add_f64 v[132:133], v[44:45], -v[120:121]
	v_fma_f64 v[122:123], v[30:31], v[56:57], -v[0:1]
	v_fma_f64 v[124:125], v[32:33], v[56:57], v[2:3]
	ds_read_b128 v[0:3], v40 offset:3584
	ds_read_b128 v[8:11], v40 offset:4480
	s_clause 0x1
	global_load_dwordx4 v[100:103], v18, s[2:3] offset:384
	global_load_dwordx4 v[92:95], v18, s[2:3] offset:400
	v_add_f64 v[164:165], v[38:39], -v[46:47]
	v_add_f64 v[134:135], v[34:35], -v[122:123]
	v_add_f64 v[130:131], v[36:37], -v[124:125]
	s_waitcnt vmcnt(3) lgkmcnt(1)
	v_mul_f64 v[30:31], v[2:3], v[98:99]
	v_fma_f64 v[140:141], v[0:1], v[96:97], -v[30:31]
	v_mul_f64 v[0:1], v[0:1], v[98:99]
	v_fma_f64 v[142:143], v[2:3], v[96:97], v[0:1]
	s_waitcnt vmcnt(2)
	v_mul_f64 v[0:1], v[28:29], v[90:91]
	v_fma_f64 v[144:145], v[26:27], v[88:89], -v[0:1]
	v_mul_f64 v[0:1], v[26:27], v[90:91]
	v_fma_f64 v[146:147], v[28:29], v[88:89], v[0:1]
	ds_read_b128 v[0:3], v40 offset:8960
	ds_read_b128 v[26:29], v40 offset:9856
	s_waitcnt vmcnt(1) lgkmcnt(1)
	v_mul_f64 v[30:31], v[2:3], v[102:103]
	v_fma_f64 v[148:149], v[0:1], v[100:101], -v[30:31]
	v_mul_f64 v[0:1], v[0:1], v[102:103]
	v_add_f64 v[168:169], v[144:145], -v[148:149]
	v_fma_f64 v[150:151], v[2:3], v[100:101], v[0:1]
	s_waitcnt vmcnt(0)
	v_mul_f64 v[0:1], v[6:7], v[94:95]
	v_fma_f64 v[152:153], v[4:5], v[92:93], -v[0:1]
	v_mul_f64 v[0:1], v[4:5], v[94:95]
	v_fma_f64 v[154:155], v[6:7], v[92:93], v[0:1]
	v_and_b32_e32 v0, 0xff, v20
	v_mul_lo_u16 v0, 0xab, v0
	v_lshrrev_b16 v49, 12, v0
	v_mul_lo_u16 v0, v49, 24
	v_sub_nc_u16 v0, v20, v0
	v_and_b32_e32 v18, 0xff, v0
	v_lshlrev_b32_e32 v2, 6, v18
	s_clause 0x3
	global_load_dwordx4 v[112:115], v2, s[2:3] offset:352
	global_load_dwordx4 v[108:111], v2, s[2:3] offset:368
	;; [unrolled: 1-line block ×4, first 2 shown]
	s_waitcnt vmcnt(3)
	v_mul_f64 v[0:1], v[10:11], v[114:115]
	v_fma_f64 v[156:157], v[8:9], v[112:113], -v[0:1]
	v_mul_f64 v[0:1], v[8:9], v[114:115]
	v_fma_f64 v[8:9], v[10:11], v[112:113], v[0:1]
	s_waitcnt vmcnt(2)
	v_mul_f64 v[0:1], v[14:15], v[110:111]
	v_fma_f64 v[10:11], v[12:13], v[108:109], -v[0:1]
	v_mul_f64 v[0:1], v[12:13], v[110:111]
	v_fma_f64 v[12:13], v[14:15], v[108:109], v[0:1]
	s_waitcnt vmcnt(1) lgkmcnt(0)
	v_mul_f64 v[0:1], v[28:29], v[118:119]
	v_fma_f64 v[14:15], v[26:27], v[116:117], -v[0:1]
	v_mul_f64 v[0:1], v[26:27], v[118:119]
	v_add_f64 v[26:27], v[38:39], v[46:47]
	v_fma_f64 v[158:159], v[28:29], v[116:117], v[0:1]
	ds_read_b128 v[0:3], v40 offset:12544
	s_waitcnt vmcnt(0) lgkmcnt(0)
	v_mul_f64 v[4:5], v[2:3], v[106:107]
	v_fma_f64 v[160:161], v[0:1], v[104:105], -v[4:5]
	v_mul_f64 v[0:1], v[0:1], v[106:107]
	v_fma_f64 v[162:163], v[2:3], v[104:105], v[0:1]
	v_add_f64 v[0:1], v[34:35], -v[38:39]
	v_add_f64 v[2:3], v[122:123], -v[46:47]
	v_add_f64 v[30:31], v[0:1], v[2:3]
	v_add_f64 v[0:1], v[36:37], -v[44:45]
	v_add_f64 v[2:3], v[124:125], -v[120:121]
	v_add_f64 v[32:33], v[0:1], v[2:3]
	ds_read_b128 v[0:3], v40
	ds_read_b128 v[4:7], v40 offset:896
	s_waitcnt lgkmcnt(0)
	s_barrier
	buffer_gl0_inv
	v_fma_f64 v[126:127], v[26:27], -0.5, v[0:1]
	v_add_f64 v[26:27], v[44:45], v[120:121]
	v_fma_f64 v[128:129], v[26:27], -0.5, v[2:3]
	v_fma_f64 v[26:27], v[130:131], s[14:15], v[126:127]
	v_fma_f64 v[126:127], v[130:131], s[12:13], v[126:127]
	v_fma_f64 v[28:29], v[134:135], s[12:13], v[128:129]
	v_fma_f64 v[128:129], v[134:135], s[14:15], v[128:129]
	v_fma_f64 v[26:27], v[132:133], s[0:1], v[26:27]
	v_fma_f64 v[126:127], v[132:133], s[4:5], v[126:127]
	v_fma_f64 v[28:29], v[164:165], s[4:5], v[28:29]
	v_fma_f64 v[128:129], v[164:165], s[0:1], v[128:129]
	v_fma_f64 v[26:27], v[30:31], s[16:17], v[26:27]
	v_fma_f64 v[30:31], v[30:31], s[16:17], v[126:127]
	v_add_f64 v[126:127], v[34:35], v[122:123]
	v_fma_f64 v[28:29], v[32:33], s[16:17], v[28:29]
	v_fma_f64 v[32:33], v[32:33], s[16:17], v[128:129]
	v_add_f64 v[128:129], v[36:37], v[124:125]
	v_fma_f64 v[126:127], v[126:127], -0.5, v[0:1]
	v_add_f64 v[0:1], v[0:1], v[34:35]
	v_fma_f64 v[128:129], v[128:129], -0.5, v[2:3]
	v_add_f64 v[2:3], v[2:3], v[36:37]
	v_add_f64 v[0:1], v[0:1], v[38:39]
	v_add_f64 v[38:39], v[44:45], -v[36:37]
	v_add_f64 v[2:3], v[2:3], v[44:45]
	v_add_f64 v[44:45], v[46:47], -v[122:123]
	v_add_f64 v[0:1], v[0:1], v[46:47]
	v_fma_f64 v[46:47], v[132:133], s[14:15], v[126:127]
	v_add_f64 v[2:3], v[2:3], v[120:121]
	v_add_f64 v[44:45], v[166:167], v[44:45]
	;; [unrolled: 1-line block ×3, first 2 shown]
	v_add_f64 v[0:1], v[120:121], -v[124:125]
	v_fma_f64 v[120:121], v[164:165], s[14:15], v[128:129]
	v_fma_f64 v[122:123], v[164:165], s[12:13], v[128:129]
	v_add_f64 v[166:167], v[140:141], -v[152:153]
	v_add_f64 v[164:165], v[146:147], -v[150:151]
	v_add_f64 v[36:37], v[2:3], v[124:125]
	v_fma_f64 v[2:3], v[132:133], s[12:13], v[126:127]
	v_add_f64 v[0:1], v[38:39], v[0:1]
	v_fma_f64 v[38:39], v[130:131], s[4:5], v[46:47]
	v_fma_f64 v[46:47], v[134:135], s[4:5], v[120:121]
	;; [unrolled: 1-line block ×7, first 2 shown]
	v_add_f64 v[0:1], v[140:141], -v[144:145]
	v_add_f64 v[38:39], v[154:155], -v[150:151]
	;; [unrolled: 1-line block ×3, first 2 shown]
	v_fma_f64 v[120:121], v[44:45], s[16:17], v[2:3]
	v_add_f64 v[2:3], v[152:153], -v[148:149]
	v_add_f64 v[44:45], v[146:147], v[150:151]
	v_add_f64 v[0:1], v[0:1], v[2:3]
	v_add_f64 v[2:3], v[142:143], -v[146:147]
	v_fma_f64 v[44:45], v[44:45], -0.5, v[6:7]
	v_add_f64 v[2:3], v[2:3], v[38:39]
	v_add_f64 v[38:39], v[144:145], v[148:149]
	v_fma_f64 v[130:131], v[166:167], s[12:13], v[44:45]
	v_fma_f64 v[44:45], v[166:167], s[14:15], v[44:45]
	v_fma_f64 v[38:39], v[38:39], -0.5, v[4:5]
	v_fma_f64 v[130:131], v[168:169], s[4:5], v[130:131]
	v_fma_f64 v[44:45], v[168:169], s[0:1], v[44:45]
	;; [unrolled: 1-line block ×6, first 2 shown]
	v_add_f64 v[2:3], v[142:143], v[154:155]
	v_add_f64 v[44:45], v[146:147], -v[142:143]
	v_fma_f64 v[128:129], v[164:165], s[0:1], v[128:129]
	v_fma_f64 v[38:39], v[164:165], s[4:5], v[38:39]
	v_fma_f64 v[2:3], v[2:3], -0.5, v[6:7]
	v_add_f64 v[6:7], v[6:7], v[142:143]
	v_fma_f64 v[128:129], v[0:1], s[16:17], v[128:129]
	v_fma_f64 v[132:133], v[0:1], s[16:17], v[38:39]
	v_add_f64 v[0:1], v[140:141], v[152:153]
	v_add_f64 v[38:39], v[144:145], -v[140:141]
	v_add_f64 v[6:7], v[6:7], v[146:147]
	v_fma_f64 v[146:147], v[168:169], s[14:15], v[2:3]
	v_fma_f64 v[2:3], v[168:169], s[12:13], v[2:3]
	v_fma_f64 v[0:1], v[0:1], -0.5, v[4:5]
	v_add_f64 v[4:5], v[4:5], v[140:141]
	v_add_f64 v[6:7], v[6:7], v[150:151]
	v_fma_f64 v[2:3], v[166:167], s[0:1], v[2:3]
	v_add_f64 v[4:5], v[4:5], v[144:145]
	v_add_f64 v[144:145], v[148:149], -v[152:153]
	v_add_f64 v[142:143], v[6:7], v[154:155]
	v_fma_f64 v[6:7], v[164:165], s[12:13], v[0:1]
	v_fma_f64 v[0:1], v[164:165], s[14:15], v[0:1]
	v_add_f64 v[164:165], v[10:11], -v[14:15]
	v_add_f64 v[4:5], v[4:5], v[148:149]
	v_add_f64 v[38:39], v[38:39], v[144:145]
	v_fma_f64 v[6:7], v[46:47], s[0:1], v[6:7]
	v_fma_f64 v[0:1], v[46:47], s[4:5], v[0:1]
	v_add_f64 v[46:47], v[8:9], -v[162:163]
	v_add_f64 v[140:141], v[4:5], v[152:153]
	v_add_f64 v[4:5], v[150:151], -v[154:155]
	v_add_f64 v[154:155], v[156:157], -v[160:161]
	v_fma_f64 v[144:145], v[38:39], s[16:17], v[6:7]
	v_fma_f64 v[148:149], v[38:39], s[16:17], v[0:1]
	v_add_f64 v[0:1], v[156:157], -v[10:11]
	v_add_f64 v[152:153], v[12:13], -v[158:159]
	v_add_f64 v[4:5], v[44:45], v[4:5]
	v_fma_f64 v[44:45], v[166:167], s[4:5], v[146:147]
	v_fma_f64 v[150:151], v[4:5], s[16:17], v[2:3]
	v_add_f64 v[2:3], v[160:161], -v[14:15]
	v_fma_f64 v[146:147], v[4:5], s[16:17], v[44:45]
	v_add_f64 v[4:5], v[162:163], -v[158:159]
	v_add_f64 v[0:1], v[0:1], v[2:3]
	v_add_f64 v[2:3], v[8:9], -v[12:13]
	v_add_f64 v[2:3], v[2:3], v[4:5]
	v_add_f64 v[4:5], v[10:11], v[14:15]
	v_fma_f64 v[38:39], v[4:5], -0.5, v[22:23]
	v_add_f64 v[4:5], v[12:13], v[158:159]
	v_fma_f64 v[44:45], v[4:5], -0.5, v[24:25]
	v_fma_f64 v[4:5], v[46:47], s[14:15], v[38:39]
	v_fma_f64 v[38:39], v[46:47], s[12:13], v[38:39]
	;; [unrolled: 1-line block ×10, first 2 shown]
	v_add_f64 v[0:1], v[156:157], v[160:161]
	v_add_f64 v[38:39], v[10:11], -v[156:157]
	v_fma_f64 v[6:7], v[2:3], s[16:17], v[6:7]
	v_fma_f64 v[194:195], v[2:3], s[16:17], v[44:45]
	v_add_f64 v[2:3], v[8:9], v[162:163]
	v_fma_f64 v[0:1], v[0:1], -0.5, v[22:23]
	v_add_f64 v[21:22], v[22:23], v[156:157]
	v_fma_f64 v[2:3], v[2:3], -0.5, v[24:25]
	v_add_f64 v[23:24], v[24:25], v[8:9]
	v_add_f64 v[10:11], v[21:22], v[10:11]
	v_fma_f64 v[44:45], v[164:165], s[14:15], v[2:3]
	v_add_f64 v[21:22], v[23:24], v[12:13]
	v_add_f64 v[12:13], v[12:13], -v[8:9]
	v_add_f64 v[8:9], v[10:11], v[14:15]
	v_add_f64 v[14:15], v[14:15], -v[160:161]
	v_fma_f64 v[2:3], v[164:165], s[12:13], v[2:3]
	v_fma_f64 v[23:24], v[152:153], s[12:13], v[0:1]
	;; [unrolled: 1-line block ×3, first 2 shown]
	v_add_f64 v[10:11], v[21:22], v[158:159]
	v_add_f64 v[21:22], v[158:159], -v[162:163]
	v_add_f64 v[8:9], v[8:9], v[160:161]
	v_add_f64 v[38:39], v[38:39], v[14:15]
	v_fma_f64 v[14:15], v[154:155], s[4:5], v[44:45]
	v_fma_f64 v[2:3], v[154:155], s[0:1], v[2:3]
	;; [unrolled: 1-line block ×3, first 2 shown]
	v_add_f64 v[10:11], v[10:11], v[162:163]
	v_add_f64 v[21:22], v[12:13], v[21:22]
	v_fma_f64 v[12:13], v[46:47], s[0:1], v[23:24]
	v_cmp_gt_u16_e64 s0, 8, v41
	v_fma_f64 v[0:1], v[38:39], s[16:17], v[0:1]
	v_fma_f64 v[14:15], v[21:22], s[16:17], v[14:15]
	;; [unrolled: 1-line block ×3, first 2 shown]
	v_mov_b32_e32 v21, 0x78
	v_fma_f64 v[12:13], v[38:39], s[16:17], v[12:13]
	v_mul_u32_u24_sdwa v16, v16, v21 dst_sel:DWORD dst_unused:UNUSED_PAD src0_sel:WORD_0 src1_sel:DWORD
	v_add_lshl_u32 v44, v16, v17, 4
	v_mul_u32_u24_sdwa v16, v19, v21 dst_sel:DWORD dst_unused:UNUSED_PAD src0_sel:WORD_0 src1_sel:DWORD
	ds_write_b128 v44, v[34:37]
	ds_write_b128 v44, v[26:29] offset:384
	ds_write_b128 v44, v[120:123] offset:768
	;; [unrolled: 1-line block ×4, first 2 shown]
	v_add_lshl_u32 v45, v16, v48, 4
	v_mul_u32_u24_sdwa v16, v49, v21 dst_sel:DWORD dst_unused:UNUSED_PAD src0_sel:WORD_0 src1_sel:DWORD
	ds_write_b128 v45, v[140:143]
	ds_write_b128 v45, v[128:131] offset:384
	ds_write_b128 v45, v[144:147] offset:768
	;; [unrolled: 1-line block ×4, first 2 shown]
	v_add_lshl_u32 v46, v16, v18, 4
	ds_write_b128 v46, v[8:11]
	ds_write_b128 v46, v[4:7] offset:384
	ds_write_b128 v46, v[12:15] offset:768
	;; [unrolled: 1-line block ×4, first 2 shown]
	s_waitcnt lgkmcnt(0)
	s_barrier
	buffer_gl0_inv
	ds_read_b128 v[0:3], v40
	ds_read_b128 v[196:199], v40 offset:896
	ds_read_b128 v[188:191], v40 offset:1920
	;; [unrolled: 1-line block ×13, first 2 shown]
                                        ; implicit-def: $vgpr12_vgpr13
                                        ; implicit-def: $vgpr16_vgpr17
                                        ; implicit-def: $vgpr140_vgpr141
                                        ; implicit-def: $vgpr4_vgpr5
                                        ; implicit-def: $vgpr8_vgpr9
	s_and_saveexec_b32 s1, s0
	s_cbranch_execz .LBB0_17
; %bb.16:
	ds_read_b128 v[192:195], v40 offset:1792
	ds_read_b128 v[136:139], v40 offset:3712
	;; [unrolled: 1-line block ×7, first 2 shown]
.LBB0_17:
	s_or_b32 exec_lo, exec_lo, s1
	v_mad_u64_u32 v[21:22], null, 0x60, v41, s[2:3]
	s_mov_b32 s26, 0x37e14327
	s_mov_b32 s20, 0x36b3c0b5
	;; [unrolled: 1-line block ×6, first 2 shown]
	s_clause 0x3
	global_load_dwordx4 v[152:155], v[21:22], off offset:1936
	global_load_dwordx4 v[156:159], v[21:22], off offset:1920
	;; [unrolled: 1-line block ×4, first 2 shown]
	s_mov_b32 s23, 0xbfe11646
	s_mov_b32 s5, 0x3febfeb5
	;; [unrolled: 1-line block ×12, first 2 shown]
	s_waitcnt vmcnt(0) lgkmcnt(11)
	v_mul_f64 v[23:24], v[190:191], v[182:183]
	v_fma_f64 v[216:217], v[188:189], v[180:181], -v[23:24]
	v_mul_f64 v[23:24], v[188:189], v[182:183]
	v_fma_f64 v[218:219], v[190:191], v[180:181], v[23:24]
	s_waitcnt lgkmcnt(9)
	v_mul_f64 v[23:24], v[186:187], v[178:179]
	v_fma_f64 v[220:221], v[184:185], v[176:177], -v[23:24]
	v_mul_f64 v[23:24], v[184:185], v[178:179]
	v_fma_f64 v[222:223], v[186:187], v[176:177], v[23:24]
	s_clause 0x1
	global_load_dwordx4 v[184:187], v[21:22], off offset:1968
	global_load_dwordx4 v[188:191], v[21:22], off offset:1952
	s_waitcnt lgkmcnt(7)
	v_mul_f64 v[23:24], v[166:167], v[158:159]
	v_add_co_u32 v21, s1, 0x1500, v21
	v_add_co_ci_u32_e64 v22, s1, 0, v22, s1
	v_fma_f64 v[224:225], v[164:165], v[156:157], -v[23:24]
	v_mul_f64 v[23:24], v[164:165], v[158:159]
	v_fma_f64 v[226:227], v[166:167], v[156:157], v[23:24]
	s_waitcnt lgkmcnt(5)
	v_mul_f64 v[23:24], v[162:163], v[154:155]
	v_fma_f64 v[228:229], v[160:161], v[152:153], -v[23:24]
	v_mul_f64 v[23:24], v[160:161], v[154:155]
	v_fma_f64 v[230:231], v[162:163], v[152:153], v[23:24]
	s_waitcnt vmcnt(0) lgkmcnt(3)
	v_mul_f64 v[23:24], v[150:151], v[190:191]
	v_fma_f64 v[232:233], v[148:149], v[188:189], -v[23:24]
	v_mul_f64 v[23:24], v[148:149], v[190:191]
	v_fma_f64 v[234:235], v[150:151], v[188:189], v[23:24]
	s_waitcnt lgkmcnt(1)
	v_mul_f64 v[23:24], v[146:147], v[186:187]
	v_fma_f64 v[236:237], v[144:145], v[184:185], -v[23:24]
	v_mul_f64 v[23:24], v[144:145], v[186:187]
	v_fma_f64 v[238:239], v[146:147], v[184:185], v[23:24]
	s_clause 0x3
	global_load_dwordx4 v[144:147], v[21:22], off offset:1936
	global_load_dwordx4 v[148:151], v[21:22], off offset:1920
	;; [unrolled: 1-line block ×4, first 2 shown]
	s_waitcnt vmcnt(0)
	v_mul_f64 v[23:24], v[174:175], v[166:167]
	v_fma_f64 v[252:253], v[172:173], v[164:165], -v[23:24]
	v_mul_f64 v[23:24], v[172:173], v[166:167]
	v_fma_f64 v[254:255], v[174:175], v[164:165], v[23:24]
	v_mul_f64 v[23:24], v[170:171], v[162:163]
	v_fma_f64 v[248:249], v[168:169], v[160:161], -v[23:24]
	v_mul_f64 v[23:24], v[168:169], v[162:163]
	v_fma_f64 v[250:251], v[170:171], v[160:161], v[23:24]
	s_clause 0x1
	global_load_dwordx4 v[172:175], v[21:22], off offset:1968
	global_load_dwordx4 v[168:171], v[21:22], off offset:1952
	v_mul_f64 v[23:24], v[134:135], v[150:151]
	v_fma_f64 v[244:245], v[132:133], v[148:149], -v[23:24]
	v_mul_f64 v[23:24], v[132:133], v[150:151]
	v_fma_f64 v[246:247], v[134:135], v[148:149], v[23:24]
	v_mul_f64 v[23:24], v[130:131], v[146:147]
	v_fma_f64 v[26:27], v[128:129], v[144:145], -v[23:24]
	v_mul_f64 v[23:24], v[128:129], v[146:147]
	v_fma_f64 v[30:31], v[130:131], v[144:145], v[23:24]
	s_waitcnt vmcnt(0)
	v_mul_f64 v[21:22], v[126:127], v[170:171]
	v_fma_f64 v[32:33], v[124:125], v[168:169], -v[21:22]
	v_mul_f64 v[21:22], v[124:125], v[170:171]
	v_fma_f64 v[34:35], v[126:127], v[168:169], v[21:22]
	s_waitcnt lgkmcnt(0)
	v_mul_f64 v[21:22], v[122:123], v[174:175]
	v_fma_f64 v[36:37], v[120:121], v[172:173], -v[21:22]
	v_mul_f64 v[21:22], v[120:121], v[174:175]
	v_fma_f64 v[38:39], v[122:123], v[172:173], v[21:22]
	v_add_nc_u32_e32 v21, -8, v41
	v_cndmask_b32_e64 v20, v21, v20, s0
	v_mul_hi_i32_i24_e32 v21, 0x60, v20
	v_mul_i32_i24_e32 v20, 0x60, v20
	v_add_co_u32 v24, s1, s2, v20
	v_add_co_ci_u32_e64 v25, s1, s3, v21, s1
	s_clause 0x3
	global_load_dwordx4 v[120:123], v[24:25], off offset:1936
	global_load_dwordx4 v[124:127], v[24:25], off offset:1920
	;; [unrolled: 1-line block ×4, first 2 shown]
	s_mov_b32 s2, 0x37c3f68c
	s_mov_b32 s3, 0x3fdc38aa
	s_waitcnt vmcnt(0)
	v_mul_f64 v[20:21], v[138:139], v[134:135]
	v_fma_f64 v[208:209], v[136:137], v[132:133], -v[20:21]
	v_mul_f64 v[20:21], v[136:137], v[134:135]
	v_fma_f64 v[210:211], v[138:139], v[132:133], v[20:21]
	v_mul_f64 v[20:21], v[14:15], v[130:131]
	v_fma_f64 v[200:201], v[12:13], v[128:129], -v[20:21]
	v_mul_f64 v[12:13], v[12:13], v[130:131]
	v_fma_f64 v[202:203], v[14:15], v[128:129], v[12:13]
	v_mul_f64 v[12:13], v[18:19], v[126:127]
	v_add_f64 v[14:15], v[222:223], v[234:235]
	v_fma_f64 v[20:21], v[16:17], v[124:125], -v[12:13]
	v_mul_f64 v[12:13], v[16:17], v[126:127]
	v_add_f64 v[16:17], v[220:221], -v[232:233]
	v_fma_f64 v[22:23], v[18:19], v[124:125], v[12:13]
	v_mul_f64 v[12:13], v[142:143], v[122:123]
	v_add_f64 v[18:19], v[222:223], -v[234:235]
	v_add_f64 v[222:223], v[230:231], -v[226:227]
	v_fma_f64 v[204:205], v[140:141], v[120:121], -v[12:13]
	v_mul_f64 v[12:13], v[140:141], v[122:123]
	v_add_f64 v[234:235], v[222:223], v[18:19]
	v_fma_f64 v[206:207], v[142:143], v[120:121], v[12:13]
	s_clause 0x1
	global_load_dwordx4 v[136:139], v[24:25], off offset:1968
	global_load_dwordx4 v[140:143], v[24:25], off offset:1952
	s_waitcnt vmcnt(0)
	v_mul_f64 v[12:13], v[6:7], v[142:143]
	v_fma_f64 v[212:213], v[4:5], v[140:141], -v[12:13]
	v_mul_f64 v[4:5], v[4:5], v[142:143]
	v_add_f64 v[12:13], v[220:221], v[232:233]
	v_add_f64 v[220:221], v[228:229], -v[224:225]
	v_fma_f64 v[214:215], v[6:7], v[140:141], v[4:5]
	v_mul_f64 v[4:5], v[10:11], v[138:139]
	v_add_f64 v[6:7], v[218:219], v[238:239]
	v_add_f64 v[232:233], v[220:221], v[16:17]
	v_fma_f64 v[24:25], v[8:9], v[136:137], -v[4:5]
	v_mul_f64 v[4:5], v[8:9], v[138:139]
	v_add_f64 v[8:9], v[216:217], -v[236:237]
	v_fma_f64 v[28:29], v[10:11], v[136:137], v[4:5]
	v_add_f64 v[4:5], v[216:217], v[236:237]
	v_add_f64 v[10:11], v[218:219], -v[238:239]
	v_add_f64 v[216:217], v[224:225], v[228:229]
	v_add_f64 v[218:219], v[226:227], v[230:231]
	;; [unrolled: 1-line block ×3, first 2 shown]
	v_add_f64 v[230:231], v[14:15], -v[6:7]
	v_add_f64 v[236:237], v[220:221], -v[16:17]
	;; [unrolled: 1-line block ×5, first 2 shown]
	v_add_f64 v[8:9], v[232:233], v[8:9]
	v_add_f64 v[224:225], v[12:13], v[4:5]
	v_add_f64 v[228:229], v[12:13], -v[4:5]
	v_add_f64 v[4:5], v[4:5], -v[216:217]
	;; [unrolled: 1-line block ×6, first 2 shown]
	v_add_f64 v[226:227], v[218:219], v[226:227]
	v_add_f64 v[222:223], v[10:11], -v[222:223]
	v_add_f64 v[10:11], v[234:235], v[10:11]
	v_mul_f64 v[232:233], v[236:237], s[22:23]
	v_mul_f64 v[234:235], v[238:239], s[22:23]
	;; [unrolled: 1-line block ×3, first 2 shown]
	v_add_f64 v[224:225], v[216:217], v[224:225]
	v_mul_f64 v[238:239], v[18:19], s[4:5]
	v_add_f64 v[218:219], v[2:3], v[226:227]
	v_mul_f64 v[2:3], v[6:7], s[26:27]
	v_mul_f64 v[6:7], v[14:15], s[20:21]
	v_fma_f64 v[16:17], v[16:17], s[4:5], -v[232:233]
	v_fma_f64 v[18:19], v[18:19], s[4:5], -v[234:235]
	v_add_f64 v[216:217], v[0:1], v[224:225]
	v_mul_f64 v[0:1], v[4:5], s[26:27]
	v_mul_f64 v[4:5], v[12:13], s[20:21]
	v_fma_f64 v[226:227], v[226:227], s[24:25], v[218:219]
	v_fma_f64 v[14:15], v[14:15], s[20:21], v[2:3]
	v_fma_f64 v[6:7], v[230:231], s[14:15], -v[6:7]
	v_fma_f64 v[2:3], v[230:231], s[16:17], -v[2:3]
	v_fma_f64 v[230:231], v[222:223], s[18:19], v[234:235]
	v_fma_f64 v[222:223], v[222:223], s[12:13], -v[238:239]
	v_fma_f64 v[16:17], v[8:9], s[2:3], v[16:17]
	v_fma_f64 v[18:19], v[10:11], s[2:3], v[18:19]
	;; [unrolled: 1-line block ×4, first 2 shown]
	v_fma_f64 v[4:5], v[228:229], s[14:15], -v[4:5]
	v_fma_f64 v[0:1], v[228:229], s[16:17], -v[0:1]
	v_fma_f64 v[228:229], v[220:221], s[18:19], v[232:233]
	v_fma_f64 v[220:221], v[220:221], s[12:13], -v[236:237]
	v_add_f64 v[14:15], v[14:15], v[226:227]
	v_add_f64 v[6:7], v[6:7], v[226:227]
	;; [unrolled: 1-line block ×3, first 2 shown]
	v_fma_f64 v[49:50], v[10:11], s[2:3], v[230:231]
	v_fma_f64 v[10:11], v[10:11], s[2:3], v[222:223]
	v_add_f64 v[12:13], v[12:13], v[224:225]
	v_add_f64 v[4:5], v[4:5], v[224:225]
	;; [unrolled: 1-line block ×3, first 2 shown]
	v_fma_f64 v[47:48], v[8:9], s[2:3], v[228:229]
	v_fma_f64 v[8:9], v[8:9], s[2:3], v[220:221]
	v_add_f64 v[234:235], v[16:17], v[6:7]
	v_add_f64 v[230:231], v[6:7], -v[16:17]
	v_add_f64 v[6:7], v[254:255], -v[38:39]
	v_add_f64 v[16:17], v[244:245], v[26:27]
	v_add_f64 v[26:27], v[26:27], -v[244:245]
	v_add_f64 v[240:241], v[49:50], v[12:13]
	;; [unrolled: 2-line block ×3, first 2 shown]
	v_add_f64 v[224:225], v[0:1], -v[10:11]
	v_add_f64 v[238:239], v[2:3], -v[8:9]
	v_add_f64 v[226:227], v[8:9], v[2:3]
	v_add_f64 v[0:1], v[252:253], v[36:37]
	;; [unrolled: 1-line block ×5, first 2 shown]
	v_add_f64 v[242:243], v[14:15], -v[47:48]
	v_add_f64 v[228:229], v[18:19], v[4:5]
	v_add_f64 v[220:221], v[12:13], -v[49:50]
	v_add_f64 v[222:223], v[47:48], v[14:15]
	v_add_f64 v[4:5], v[252:253], -v[36:37]
	v_add_f64 v[12:13], v[248:249], -v[32:33]
	;; [unrolled: 1-line block ×3, first 2 shown]
	v_add_f64 v[18:19], v[246:247], v[30:31]
	v_add_f64 v[30:31], v[30:31], -v[246:247]
	v_add_f64 v[32:33], v[8:9], v[0:1]
	v_add_f64 v[34:35], v[10:11], v[2:3]
	v_add_f64 v[36:37], v[8:9], -v[0:1]
	v_add_f64 v[38:39], v[10:11], -v[2:3]
	;; [unrolled: 1-line block ×4, first 2 shown]
	v_add_f64 v[47:48], v[26:27], v[12:13]
	v_add_f64 v[244:245], v[26:27], -v[12:13]
	v_add_f64 v[2:3], v[2:3], -v[18:19]
	;; [unrolled: 1-line block ×3, first 2 shown]
	v_add_f64 v[49:50], v[30:31], v[14:15]
	v_add_f64 v[246:247], v[30:31], -v[14:15]
	v_add_f64 v[12:13], v[12:13], -v[4:5]
	;; [unrolled: 1-line block ×5, first 2 shown]
	v_add_f64 v[16:17], v[16:17], v[32:33]
	v_add_f64 v[18:19], v[18:19], v[34:35]
	v_mul_f64 v[0:1], v[0:1], s[26:27]
	v_mul_f64 v[32:33], v[8:9], s[20:21]
	v_add_f64 v[4:5], v[47:48], v[4:5]
	v_mul_f64 v[47:48], v[244:245], s[22:23]
	v_mul_f64 v[2:3], v[2:3], s[26:27]
	;; [unrolled: 1-line block ×3, first 2 shown]
	v_add_f64 v[6:7], v[49:50], v[6:7]
	v_mul_f64 v[49:50], v[246:247], s[22:23]
	v_add_f64 v[248:249], v[196:197], v[16:17]
	v_add_f64 v[250:251], v[198:199], v[18:19]
	v_mul_f64 v[196:197], v[12:13], s[4:5]
	v_mul_f64 v[198:199], v[14:15], s[4:5]
	v_fma_f64 v[8:9], v[8:9], s[20:21], v[0:1]
	v_fma_f64 v[32:33], v[36:37], s[14:15], -v[32:33]
	v_fma_f64 v[0:1], v[36:37], s[16:17], -v[0:1]
	v_fma_f64 v[36:37], v[26:27], s[18:19], v[47:48]
	v_fma_f64 v[10:11], v[10:11], s[20:21], v[2:3]
	v_fma_f64 v[34:35], v[38:39], s[14:15], -v[34:35]
	v_fma_f64 v[2:3], v[38:39], s[16:17], -v[2:3]
	v_fma_f64 v[38:39], v[30:31], s[18:19], v[49:50]
	v_fma_f64 v[12:13], v[12:13], s[4:5], -v[47:48]
	v_fma_f64 v[14:15], v[14:15], s[4:5], -v[49:50]
	v_fma_f64 v[16:17], v[16:17], s[24:25], v[248:249]
	v_fma_f64 v[18:19], v[18:19], s[24:25], v[250:251]
	v_fma_f64 v[26:27], v[26:27], s[12:13], -v[196:197]
	v_fma_f64 v[30:31], v[30:31], s[12:13], -v[198:199]
	v_fma_f64 v[36:37], v[4:5], s[2:3], v[36:37]
	v_fma_f64 v[38:39], v[6:7], s[2:3], v[38:39]
	;; [unrolled: 1-line block ×4, first 2 shown]
	v_add_f64 v[32:33], v[32:33], v[16:17]
	v_add_f64 v[34:35], v[34:35], v[18:19]
	v_add_f64 v[0:1], v[0:1], v[16:17]
	v_add_f64 v[2:3], v[2:3], v[18:19]
	v_fma_f64 v[26:27], v[4:5], s[2:3], v[26:27]
	v_fma_f64 v[30:31], v[6:7], s[2:3], v[30:31]
	v_add_f64 v[47:48], v[8:9], v[16:17]
	v_add_f64 v[49:50], v[10:11], v[18:19]
	v_add_f64 v[8:9], v[32:33], -v[198:199]
	v_add_f64 v[10:11], v[196:197], v[34:35]
	v_add_f64 v[4:5], v[198:199], v[32:33]
	v_add_f64 v[6:7], v[34:35], -v[196:197]
	v_add_f64 v[14:15], v[2:3], -v[26:27]
	v_add_f64 v[12:13], v[30:31], v[0:1]
	v_add_f64 v[0:1], v[0:1], -v[30:31]
	v_add_f64 v[2:3], v[26:27], v[2:3]
	v_add_f64 v[26:27], v[208:209], v[24:25]
	;; [unrolled: 1-line block ×6, first 2 shown]
	v_add_f64 v[18:19], v[49:50], -v[36:37]
	v_add_f64 v[252:253], v[47:48], -v[38:39]
	v_add_f64 v[254:255], v[36:37], v[49:50]
	v_add_f64 v[24:25], v[208:209], -v[24:25]
	v_add_f64 v[28:29], v[210:211], -v[28:29]
	;; [unrolled: 1-line block ×4, first 2 shown]
	v_add_f64 v[47:48], v[20:21], v[204:205]
	v_add_f64 v[49:50], v[22:23], v[206:207]
	v_add_f64 v[20:21], v[204:205], -v[20:21]
	v_add_f64 v[22:23], v[206:207], -v[22:23]
	ds_write_b128 v40, v[216:219]
	ds_write_b128 v40, v[240:243] offset:1920
	ds_write_b128 v40, v[236:239] offset:3840
	;; [unrolled: 1-line block ×13, first 2 shown]
	v_add_f64 v[196:197], v[32:33], v[26:27]
	v_add_f64 v[198:199], v[34:35], v[30:31]
	v_add_f64 v[200:201], v[32:33], -v[26:27]
	v_add_f64 v[202:203], v[34:35], -v[30:31]
	;; [unrolled: 1-line block ×6, first 2 shown]
	v_add_f64 v[204:205], v[20:21], v[36:37]
	v_add_f64 v[206:207], v[22:23], v[38:39]
	v_add_f64 v[208:209], v[20:21], -v[36:37]
	v_add_f64 v[210:211], v[22:23], -v[38:39]
	;; [unrolled: 1-line block ×6, first 2 shown]
	v_add_f64 v[47:48], v[47:48], v[196:197]
	v_add_f64 v[49:50], v[49:50], v[198:199]
	v_mul_f64 v[26:27], v[26:27], s[26:27]
	v_mul_f64 v[30:31], v[30:31], s[26:27]
	v_add_f64 v[24:25], v[204:205], v[24:25]
	v_add_f64 v[28:29], v[206:207], v[28:29]
	v_mul_f64 v[196:197], v[208:209], s[22:23]
	v_mul_f64 v[198:199], v[210:211], s[22:23]
	;; [unrolled: 1-line block ×4, first 2 shown]
	v_add_f64 v[212:213], v[192:193], v[47:48]
	v_add_f64 v[214:215], v[194:195], v[49:50]
	v_mul_f64 v[192:193], v[32:33], s[20:21]
	v_mul_f64 v[194:195], v[34:35], s[20:21]
	v_fma_f64 v[32:33], v[32:33], s[20:21], v[26:27]
	v_fma_f64 v[34:35], v[34:35], s[20:21], v[30:31]
	v_fma_f64 v[26:27], v[200:201], s[16:17], -v[26:27]
	v_fma_f64 v[30:31], v[202:203], s[16:17], -v[30:31]
	;; [unrolled: 1-line block ×4, first 2 shown]
	v_fma_f64 v[47:48], v[47:48], s[24:25], v[212:213]
	v_fma_f64 v[49:50], v[49:50], s[24:25], v[214:215]
	v_fma_f64 v[192:193], v[200:201], s[14:15], -v[192:193]
	v_fma_f64 v[194:195], v[202:203], s[14:15], -v[194:195]
	v_fma_f64 v[200:201], v[20:21], s[18:19], v[196:197]
	v_fma_f64 v[202:203], v[22:23], s[18:19], v[198:199]
	v_fma_f64 v[20:21], v[20:21], s[12:13], -v[204:205]
	v_fma_f64 v[22:23], v[22:23], s[12:13], -v[206:207]
	v_fma_f64 v[36:37], v[24:25], s[2:3], v[36:37]
	v_fma_f64 v[38:39], v[28:29], s[2:3], v[38:39]
	v_add_f64 v[32:33], v[32:33], v[47:48]
	v_add_f64 v[34:35], v[34:35], v[49:50]
	;; [unrolled: 1-line block ×6, first 2 shown]
	v_fma_f64 v[47:48], v[24:25], s[2:3], v[200:201]
	v_fma_f64 v[49:50], v[28:29], s[2:3], v[202:203]
	;; [unrolled: 1-line block ×4, first 2 shown]
	v_add_f64 v[196:197], v[204:205], -v[38:39]
	v_add_f64 v[198:199], v[36:37], v[206:207]
	v_add_f64 v[200:201], v[38:39], v[204:205]
	v_add_f64 v[202:203], v[206:207], -v[36:37]
	v_add_f64 v[246:247], v[34:35], -v[47:48]
	v_add_f64 v[244:245], v[49:50], v[32:33]
	v_add_f64 v[194:195], v[30:31], -v[20:21]
	v_add_f64 v[192:193], v[22:23], v[26:27]
	;; [unrolled: 2-line block ×4, first 2 shown]
	s_and_saveexec_b32 s1, s0
	s_cbranch_execz .LBB0_19
; %bb.18:
	ds_write_b128 v40, v[212:215] offset:1792
	ds_write_b128 v40, v[244:247] offset:3712
	;; [unrolled: 1-line block ×7, first 2 shown]
.LBB0_19:
	s_or_b32 exec_lo, exec_lo, s1
	v_add_co_u32 v20, s1, 0x3000, v43
	v_add_co_ci_u32_e64 v21, s1, 0, v42, s1
	s_waitcnt lgkmcnt(0)
	s_barrier
	buffer_gl0_inv
	global_load_dwordx4 v[0:3], v[20:21], off offset:1152
	v_add_co_u32 v14, s1, 0x4800, v43
	v_add_co_ci_u32_e64 v15, s1, 0, v42, s1
	v_add_co_u32 v12, s1, 0x3480, v43
	v_add_co_ci_u32_e64 v13, s1, 0, v42, s1
	s_clause 0x1
	global_load_dwordx4 v[4:7], v[14:15], off offset:1728
	global_load_dwordx4 v[8:11], v[12:13], off offset:896
	v_add_co_u32 v38, s1, 0x5000, v43
	v_add_co_ci_u32_e64 v39, s1, 0, v42, s1
	s_clause 0x1
	global_load_dwordx4 v[16:19], v[38:39], off offset:576
	global_load_dwordx4 v[22:25], v[12:13], off offset:1792
	ds_read_b128 v[26:29], v40
	v_add_co_u32 v47, s1, 0x6000, v43
	v_add_co_ci_u32_e64 v48, s1, 0, v42, s1
	ds_read_b128 v[30:33], v40 offset:6720
	ds_read_b128 v[34:37], v40 offset:896
	s_clause 0x1
	global_load_dwordx4 v[216:219], v[38:39], off offset:1472
	global_load_dwordx4 v[220:223], v[47:48], off offset:960
	v_add_co_u32 v49, s1, 0x3800, v43
	v_add_co_ci_u32_e64 v50, s1, 0, v42, s1
	ds_read_b128 v[224:227], v40 offset:7616
	ds_read_b128 v[228:231], v40 offset:5376
	s_clause 0x1
	global_load_dwordx4 v[232:235], v[14:15], off offset:384
	global_load_dwordx4 v[236:239], v[49:50], off offset:1792
	v_add_co_u32 v49, s1, 0x5800, v43
	v_add_co_ci_u32_e64 v50, s1, 0, v42, s1
	s_waitcnt vmcnt(8) lgkmcnt(4)
	v_mul_f64 v[38:39], v[28:29], v[2:3]
	v_mul_f64 v[2:3], v[26:27], v[2:3]
	s_waitcnt vmcnt(7) lgkmcnt(3)
	v_mul_f64 v[14:15], v[32:33], v[6:7]
	v_mul_f64 v[6:7], v[30:31], v[6:7]
	v_fma_f64 v[26:27], v[26:27], v[0:1], -v[38:39]
	s_waitcnt vmcnt(6) lgkmcnt(2)
	v_mul_f64 v[38:39], v[36:37], v[10:11]
	v_mul_f64 v[10:11], v[34:35], v[10:11]
	v_fma_f64 v[28:29], v[28:29], v[0:1], v[2:3]
	v_fma_f64 v[0:1], v[30:31], v[4:5], -v[14:15]
	s_waitcnt vmcnt(5) lgkmcnt(1)
	v_mul_f64 v[14:15], v[226:227], v[18:19]
	v_mul_f64 v[18:19], v[224:225], v[18:19]
	v_fma_f64 v[2:3], v[32:33], v[4:5], v[6:7]
	ds_read_b128 v[4:7], v40 offset:8512
	v_fma_f64 v[30:31], v[34:35], v[8:9], -v[38:39]
	v_fma_f64 v[32:33], v[36:37], v[8:9], v[10:11]
	global_load_dwordx4 v[8:11], v[49:50], off offset:320
	ds_read_b128 v[34:37], v40 offset:1792
	v_add_co_u32 v38, s1, 0x4000, v43
	v_add_co_ci_u32_e64 v39, s1, 0, v42, s1
	v_fma_f64 v[14:15], v[224:225], v[16:17], -v[14:15]
	v_fma_f64 v[16:17], v[226:227], v[16:17], v[18:19]
	ds_read_b128 v[224:227], v40 offset:2688
	s_waitcnt vmcnt(4) lgkmcnt(2)
	v_mul_f64 v[42:43], v[4:5], v[218:219]
	s_waitcnt lgkmcnt(1)
	v_mul_f64 v[18:19], v[36:37], v[24:25]
	v_mul_f64 v[24:25], v[34:35], v[24:25]
	v_fma_f64 v[34:35], v[34:35], v[22:23], -v[18:19]
	v_fma_f64 v[36:37], v[36:37], v[22:23], v[24:25]
	s_clause 0x1
	global_load_dwordx4 v[22:25], v[38:39], off offset:640
	global_load_dwordx4 v[240:243], v[49:50], off offset:1216
	v_mul_f64 v[18:19], v[6:7], v[218:219]
	v_fma_f64 v[6:7], v[6:7], v[216:217], v[42:43]
	s_waitcnt vmcnt(3) lgkmcnt(0)
	v_mul_f64 v[42:43], v[224:225], v[238:239]
	v_fma_f64 v[4:5], v[4:5], v[216:217], -v[18:19]
	v_mul_f64 v[18:19], v[226:227], v[238:239]
	ds_read_b128 v[216:219], v40 offset:9408
	v_fma_f64 v[226:227], v[226:227], v[236:237], v[42:43]
	v_fma_f64 v[224:225], v[224:225], v[236:237], -v[18:19]
	ds_read_b128 v[236:239], v40 offset:10304
	s_waitcnt vmcnt(2) lgkmcnt(1)
	v_mul_f64 v[18:19], v[218:219], v[10:11]
	v_mul_f64 v[10:11], v[216:217], v[10:11]
	v_fma_f64 v[216:217], v[216:217], v[8:9], -v[18:19]
	v_fma_f64 v[218:219], v[218:219], v[8:9], v[10:11]
	ds_read_b128 v[8:11], v40 offset:3584
	ds_read_b128 v[248:251], v40 offset:4480
	s_waitcnt vmcnt(1) lgkmcnt(1)
	v_mul_f64 v[18:19], v[10:11], v[24:25]
	v_mul_f64 v[24:25], v[8:9], v[24:25]
	v_fma_f64 v[8:9], v[8:9], v[22:23], -v[18:19]
	v_fma_f64 v[10:11], v[10:11], v[22:23], v[24:25]
	s_waitcnt vmcnt(0)
	v_mul_f64 v[18:19], v[238:239], v[242:243]
	v_mul_f64 v[24:25], v[236:237], v[242:243]
	v_fma_f64 v[22:23], v[236:237], v[240:241], -v[18:19]
	v_fma_f64 v[24:25], v[238:239], v[240:241], v[24:25]
	s_clause 0x1
	global_load_dwordx4 v[236:239], v[38:39], off offset:1536
	global_load_dwordx4 v[240:243], v[47:48], off offset:64
	s_waitcnt vmcnt(1) lgkmcnt(0)
	v_mul_f64 v[18:19], v[250:251], v[238:239]
	v_mul_f64 v[38:39], v[248:249], v[238:239]
	v_fma_f64 v[248:249], v[248:249], v[236:237], -v[18:19]
	v_fma_f64 v[250:251], v[250:251], v[236:237], v[38:39]
	ds_read_b128 v[236:239], v40 offset:11200
	ds_read_b128 v[252:255], v40 offset:12096
	s_waitcnt vmcnt(0) lgkmcnt(1)
	v_mul_f64 v[18:19], v[238:239], v[242:243]
	v_mul_f64 v[38:39], v[236:237], v[242:243]
	v_fma_f64 v[236:237], v[236:237], v[240:241], -v[18:19]
	v_fma_f64 v[238:239], v[238:239], v[240:241], v[38:39]
	v_mul_f64 v[18:19], v[230:231], v[234:235]
	v_mul_f64 v[38:39], v[228:229], v[234:235]
	v_fma_f64 v[228:229], v[228:229], v[232:233], -v[18:19]
	v_fma_f64 v[230:231], v[230:231], v[232:233], v[38:39]
	s_waitcnt lgkmcnt(0)
	v_mul_f64 v[18:19], v[254:255], v[222:223]
	v_mul_f64 v[38:39], v[252:253], v[222:223]
	v_fma_f64 v[232:233], v[252:253], v[220:221], -v[18:19]
	v_fma_f64 v[234:235], v[254:255], v[220:221], v[38:39]
	ds_write_b128 v40, v[26:29]
	ds_write_b128 v40, v[0:3] offset:6720
	ds_write_b128 v40, v[30:33] offset:896
	;; [unrolled: 1-line block ×13, first 2 shown]
	s_and_saveexec_b32 s2, vcc_lo
	s_cbranch_execz .LBB0_21
; %bb.20:
	v_add_co_u32 v0, s1, 0x1800, v12
	v_add_co_ci_u32_e64 v1, s1, 0, v13, s1
	v_add_co_u32 v4, s1, 0x3000, v12
	v_add_co_ci_u32_e64 v5, s1, 0, v13, s1
	s_clause 0x1
	global_load_dwordx4 v[0:3], v[0:1], off offset:128
	global_load_dwordx4 v[4:7], v[4:5], off offset:704
	ds_read_b128 v[8:11], v40 offset:6272
	ds_read_b128 v[12:15], v40 offset:12992
	s_waitcnt vmcnt(1) lgkmcnt(1)
	v_mul_f64 v[16:17], v[10:11], v[2:3]
	v_mul_f64 v[2:3], v[8:9], v[2:3]
	s_waitcnt vmcnt(0) lgkmcnt(0)
	v_mul_f64 v[18:19], v[14:15], v[6:7]
	v_mul_f64 v[22:23], v[12:13], v[6:7]
	v_fma_f64 v[6:7], v[8:9], v[0:1], -v[16:17]
	v_fma_f64 v[8:9], v[10:11], v[0:1], v[2:3]
	v_fma_f64 v[0:1], v[12:13], v[4:5], -v[18:19]
	v_fma_f64 v[2:3], v[14:15], v[4:5], v[22:23]
	ds_write_b128 v40, v[6:9] offset:6272
	ds_write_b128 v40, v[0:3] offset:12992
.LBB0_21:
	s_or_b32 exec_lo, exec_lo, s2
	s_waitcnt lgkmcnt(0)
	s_barrier
	buffer_gl0_inv
	ds_read_b128 v[0:3], v40
	ds_read_b128 v[8:11], v40 offset:896
	ds_read_b128 v[248:251], v40 offset:7616
	;; [unrolled: 1-line block ×13, first 2 shown]
	s_and_saveexec_b32 s1, vcc_lo
	s_cbranch_execz .LBB0_23
; %bb.22:
	ds_read_b128 v[212:215], v40 offset:6272
	ds_read_b128 v[244:247], v40 offset:12992
.LBB0_23:
	s_or_b32 exec_lo, exec_lo, s1
	s_waitcnt lgkmcnt(3)
	v_add_f64 v[22:23], v[0:1], -v[252:253]
	v_add_f64 v[24:25], v[2:3], -v[254:255]
	;; [unrolled: 1-line block ×4, first 2 shown]
	v_lshlrev_b32_e32 v38, 5, v41
	s_waitcnt lgkmcnt(0)
	s_barrier
	buffer_gl0_inv
	v_add_f64 v[26:27], v[8:9], -v[248:249]
	v_add_f64 v[28:29], v[10:11], -v[250:251]
	v_add_f64 v[34:35], v[12:13], -v[236:237]
	v_add_f64 v[36:37], v[14:15], -v[238:239]
	v_add_f64 v[232:233], v[220:221], -v[232:233]
	v_add_f64 v[234:235], v[222:223], -v[234:235]
	v_add_f64 v[228:229], v[216:217], -v[228:229]
	v_add_f64 v[230:231], v[218:219], -v[230:231]
	v_add_f64 v[236:237], v[224:225], -v[4:5]
	v_add_f64 v[238:239], v[226:227], -v[6:7]
	v_add_f64 v[4:5], v[212:213], -v[244:245]
	v_add_f64 v[6:7], v[214:215], -v[246:247]
	v_fma_f64 v[240:241], v[0:1], 2.0, -v[22:23]
	v_fma_f64 v[242:243], v[2:3], 2.0, -v[24:25]
	;; [unrolled: 1-line block ×4, first 2 shown]
	ds_write_b128 v38, v[22:25] offset:16
	ds_write_b128 v38, v[240:243]
	buffer_load_dword v22, off, s[28:31], 0 offset:228 ; 4-byte Folded Reload
	v_fma_f64 v[8:9], v[8:9], 2.0, -v[26:27]
	v_fma_f64 v[10:11], v[10:11], 2.0, -v[28:29]
	;; [unrolled: 1-line block ×12, first 2 shown]
	s_waitcnt vmcnt(0)
	ds_write_b128 v22, v[8:11]
	ds_write_b128 v22, v[26:29] offset:16
	buffer_load_dword v8, off, s[28:31], 0 offset:232 ; 4-byte Folded Reload
	s_waitcnt vmcnt(0)
	ds_write_b128 v8, v[16:19]
	ds_write_b128 v8, v[30:33] offset:16
	buffer_load_dword v8, off, s[28:31], 0 offset:236 ; 4-byte Folded Reload
	;; [unrolled: 4-line block ×5, first 2 shown]
	s_waitcnt vmcnt(0)
	ds_write_b128 v8, v[224:227]
	ds_write_b128 v8, v[236:239] offset:16
	s_and_saveexec_b32 s1, vcc_lo
	s_cbranch_execz .LBB0_25
; %bb.24:
	buffer_load_dword v8, off, s[28:31], 0 offset:324 ; 4-byte Folded Reload
	s_waitcnt vmcnt(0)
	ds_write_b128 v8, v[0:3]
	ds_write_b128 v8, v[4:7] offset:16
.LBB0_25:
	s_or_b32 exec_lo, exec_lo, s1
	s_waitcnt lgkmcnt(0)
	s_barrier
	buffer_gl0_inv
	ds_read_b128 v[8:11], v40
	ds_read_b128 v[12:15], v40 offset:896
	ds_read_b128 v[248:251], v40 offset:7616
	;; [unrolled: 1-line block ×13, first 2 shown]
	s_and_saveexec_b32 s1, vcc_lo
	s_cbranch_execz .LBB0_27
; %bb.26:
	ds_read_b128 v[0:3], v40 offset:6272
	ds_read_b128 v[4:7], v40 offset:12992
.LBB0_27:
	s_or_b32 exec_lo, exec_lo, s1
	s_waitcnt lgkmcnt(6)
	v_mul_f64 v[38:39], v[82:83], v[234:235]
	v_mul_f64 v[42:43], v[82:83], v[232:233]
	s_waitcnt lgkmcnt(1)
	v_mul_f64 v[47:48], v[82:83], v[238:239]
	v_mul_f64 v[22:23], v[82:83], v[254:255]
	;; [unrolled: 1-line block ×10, first 2 shown]
	s_waitcnt lgkmcnt(0)
	s_barrier
	buffer_gl0_inv
	v_fma_f64 v[38:39], v[80:81], v[232:233], v[38:39]
	v_mul_f64 v[232:233], v[82:83], v[230:231]
	v_fma_f64 v[42:43], v[80:81], v[234:235], -v[42:43]
	v_fma_f64 v[47:48], v[80:81], v[236:237], v[47:48]
	v_fma_f64 v[22:23], v[80:81], v[252:253], v[22:23]
	v_fma_f64 v[24:25], v[80:81], v[254:255], -v[24:25]
	v_fma_f64 v[26:27], v[80:81], v[248:249], v[26:27]
	v_fma_f64 v[28:29], v[80:81], v[250:251], -v[28:29]
	;; [unrolled: 2-line block ×4, first 2 shown]
	v_fma_f64 v[49:50], v[80:81], v[238:239], -v[49:50]
	v_fma_f64 v[232:233], v[80:81], v[228:229], v[232:233]
	v_mul_f64 v[228:229], v[82:83], v[228:229]
	v_add_f64 v[22:23], v[8:9], -v[22:23]
	v_add_f64 v[24:25], v[10:11], -v[24:25]
	;; [unrolled: 1-line block ×9, first 2 shown]
	v_fma_f64 v[234:235], v[80:81], v[230:231], -v[228:229]
	v_mul_f64 v[228:229], v[82:83], v[6:7]
	v_fma_f64 v[8:9], v[8:9], 2.0, -v[22:23]
	v_fma_f64 v[10:11], v[10:11], 2.0, -v[24:25]
	;; [unrolled: 1-line block ×8, first 2 shown]
	v_add_f64 v[230:231], v[218:219], -v[49:50]
	v_fma_f64 v[224:225], v[224:225], 2.0, -v[232:233]
	v_add_f64 v[234:235], v[226:227], -v[234:235]
	v_fma_f64 v[236:237], v[80:81], v[4:5], v[228:229]
	v_mul_f64 v[4:5], v[82:83], v[4:5]
	v_add_f64 v[82:83], v[222:223], -v[42:43]
	v_add_f64 v[228:229], v[216:217], -v[47:48]
	v_fma_f64 v[218:219], v[218:219], 2.0, -v[230:231]
	v_fma_f64 v[226:227], v[226:227], 2.0, -v[234:235]
	v_fma_f64 v[6:7], v[80:81], v[6:7], -v[4:5]
	v_add_f64 v[80:81], v[220:221], -v[38:39]
	buffer_load_dword v38, off, s[28:31], 0 offset:296 ; 4-byte Folded Reload
	v_fma_f64 v[222:223], v[222:223], 2.0, -v[82:83]
	v_fma_f64 v[216:217], v[216:217], 2.0, -v[228:229]
	v_add_f64 v[4:5], v[0:1], -v[236:237]
	s_waitcnt vmcnt(0)
	ds_write_b128 v38, v[22:25] offset:32
	ds_write_b128 v38, v[8:11]
	buffer_load_dword v8, off, s[28:31], 0 offset:284 ; 4-byte Folded Reload
	v_fma_f64 v[220:221], v[220:221], 2.0, -v[80:81]
	v_add_f64 v[6:7], v[2:3], -v[6:7]
	v_fma_f64 v[0:1], v[0:1], 2.0, -v[4:5]
	s_waitcnt vmcnt(0)
	ds_write_b128 v8, v[12:15]
	ds_write_b128 v8, v[26:29] offset:32
	buffer_load_dword v8, off, s[28:31], 0 offset:276 ; 4-byte Folded Reload
	v_fma_f64 v[2:3], v[2:3], 2.0, -v[6:7]
	s_waitcnt vmcnt(0)
	ds_write_b128 v8, v[212:215]
	ds_write_b128 v8, v[30:33] offset:32
	buffer_load_dword v8, off, s[28:31], 0 offset:268 ; 4-byte Folded Reload
	s_waitcnt vmcnt(0)
	ds_write_b128 v8, v[16:19]
	ds_write_b128 v8, v[34:37] offset:32
	buffer_load_dword v8, off, s[28:31], 0 offset:260 ; 4-byte Folded Reload
	;; [unrolled: 4-line block ×4, first 2 shown]
	s_waitcnt vmcnt(0)
	ds_write_b128 v8, v[224:227]
	ds_write_b128 v8, v[232:235] offset:32
	s_and_saveexec_b32 s1, vcc_lo
	s_cbranch_execz .LBB0_29
; %bb.28:
	buffer_load_dword v8, off, s[28:31], 0  ; 4-byte Folded Reload
	v_and_b32_e32 v9, 1, v41
	s_waitcnt vmcnt(0)
	v_and_or_b32 v8, 0x37c, v8, v9
	v_lshlrev_b32_e32 v8, 4, v8
	ds_write_b128 v8, v[0:3]
	ds_write_b128 v8, v[4:7] offset:32
.LBB0_29:
	s_or_b32 exec_lo, exec_lo, s1
	s_waitcnt lgkmcnt(0)
	s_barrier
	buffer_gl0_inv
	ds_read_b128 v[12:15], v40
	ds_read_b128 v[16:19], v40 offset:896
	ds_read_b128 v[244:247], v40 offset:7616
	;; [unrolled: 1-line block ×13, first 2 shown]
	s_and_saveexec_b32 s1, vcc_lo
	s_cbranch_execz .LBB0_31
; %bb.30:
	ds_read_b128 v[0:3], v40 offset:6272
	ds_read_b128 v[4:7], v40 offset:12992
.LBB0_31:
	s_or_b32 exec_lo, exec_lo, s1
	s_waitcnt lgkmcnt(6)
	v_mul_f64 v[38:39], v[78:79], v[230:231]
	v_mul_f64 v[42:43], v[78:79], v[228:229]
	s_waitcnt lgkmcnt(3)
	v_mul_f64 v[22:23], v[78:79], v[250:251]
	v_mul_f64 v[26:27], v[78:79], v[246:247]
	v_mul_f64 v[30:31], v[78:79], v[242:243]
	v_mul_f64 v[34:35], v[78:79], v[234:235]
	v_mul_f64 v[36:37], v[78:79], v[232:233]
	v_mul_f64 v[24:25], v[78:79], v[248:249]
	v_mul_f64 v[28:29], v[78:79], v[244:245]
	v_mul_f64 v[32:33], v[78:79], v[240:241]
	s_waitcnt lgkmcnt(1)
	v_mul_f64 v[47:48], v[78:79], v[238:239]
	v_mul_f64 v[49:50], v[78:79], v[236:237]
	s_waitcnt lgkmcnt(0)
	s_barrier
	buffer_gl0_inv
	v_fma_f64 v[38:39], v[76:77], v[228:229], v[38:39]
	v_mul_f64 v[228:229], v[78:79], v[226:227]
	v_fma_f64 v[42:43], v[76:77], v[230:231], -v[42:43]
	v_fma_f64 v[22:23], v[76:77], v[248:249], v[22:23]
	v_fma_f64 v[26:27], v[76:77], v[244:245], v[26:27]
	;; [unrolled: 1-line block ×4, first 2 shown]
	v_fma_f64 v[24:25], v[76:77], v[250:251], -v[24:25]
	v_fma_f64 v[28:29], v[76:77], v[246:247], -v[28:29]
	;; [unrolled: 1-line block ×4, first 2 shown]
	v_fma_f64 v[47:48], v[76:77], v[236:237], v[47:48]
	v_fma_f64 v[49:50], v[76:77], v[238:239], -v[49:50]
	v_fma_f64 v[228:229], v[76:77], v[224:225], v[228:229]
	v_mul_f64 v[224:225], v[78:79], v[224:225]
	v_add_f64 v[228:229], v[8:9], -v[228:229]
	v_fma_f64 v[230:231], v[76:77], v[226:227], -v[224:225]
	v_mul_f64 v[224:225], v[78:79], v[6:7]
	v_add_f64 v[226:227], v[218:219], -v[49:50]
	v_fma_f64 v[8:9], v[8:9], 2.0, -v[228:229]
	v_add_f64 v[230:231], v[10:11], -v[230:231]
	v_fma_f64 v[232:233], v[76:77], v[4:5], v[224:225]
	v_mul_f64 v[4:5], v[78:79], v[4:5]
	v_add_f64 v[224:225], v[216:217], -v[47:48]
	v_fma_f64 v[218:219], v[218:219], 2.0, -v[226:227]
	v_fma_f64 v[10:11], v[10:11], 2.0, -v[230:231]
	v_fma_f64 v[78:79], v[76:77], v[6:7], -v[4:5]
	v_add_f64 v[4:5], v[12:13], -v[22:23]
	v_add_f64 v[22:23], v[16:17], -v[26:27]
	;; [unrolled: 1-line block ×5, first 2 shown]
	buffer_load_dword v38, off, s[28:31], 0 offset:300 ; 4-byte Folded Reload
	v_add_f64 v[6:7], v[14:15], -v[24:25]
	v_add_f64 v[24:25], v[18:19], -v[28:29]
	;; [unrolled: 1-line block ×5, first 2 shown]
	v_fma_f64 v[216:217], v[216:217], 2.0, -v[224:225]
	v_add_f64 v[76:77], v[0:1], -v[232:233]
	v_add_f64 v[78:79], v[2:3], -v[78:79]
	v_fma_f64 v[12:13], v[12:13], 2.0, -v[4:5]
	v_fma_f64 v[16:17], v[16:17], 2.0, -v[22:23]
	;; [unrolled: 1-line block ×10, first 2 shown]
	s_waitcnt vmcnt(0)
	ds_write_b128 v38, v[4:7] offset:64
	ds_write_b128 v38, v[12:15]
	buffer_load_dword v4, off, s[28:31], 0 offset:292 ; 4-byte Folded Reload
	s_waitcnt vmcnt(0)
	ds_write_b128 v4, v[16:19]
	ds_write_b128 v4, v[22:25] offset:64
	buffer_load_dword v4, off, s[28:31], 0 offset:288 ; 4-byte Folded Reload
	s_waitcnt vmcnt(0)
	ds_write_b128 v4, v[212:215]
	ds_write_b128 v4, v[26:29] offset:64
	buffer_load_dword v4, off, s[28:31], 0 offset:280 ; 4-byte Folded Reload
	s_waitcnt vmcnt(0)
	ds_write_b128 v4, v[80:83]
	ds_write_b128 v4, v[30:33] offset:64
	buffer_load_dword v4, off, s[28:31], 0 offset:272 ; 4-byte Folded Reload
	s_waitcnt vmcnt(0)
	ds_write_b128 v4, v[220:223]
	ds_write_b128 v4, v[34:37] offset:64
	buffer_load_dword v4, off, s[28:31], 0 offset:264 ; 4-byte Folded Reload
	s_waitcnt vmcnt(0)
	ds_write_b128 v4, v[216:219]
	ds_write_b128 v4, v[224:227] offset:64
	ds_write_b128 v51, v[8:11]
	ds_write_b128 v51, v[228:231] offset:64
	s_and_saveexec_b32 s1, vcc_lo
	s_cbranch_execz .LBB0_33
; %bb.32:
	buffer_load_dword v4, off, s[28:31], 0  ; 4-byte Folded Reload
	v_fma_f64 v[2:3], v[2:3], 2.0, -v[78:79]
	v_fma_f64 v[0:1], v[0:1], 2.0, -v[76:77]
	v_and_b32_e32 v5, 3, v41
	s_waitcnt vmcnt(0)
	v_and_or_b32 v4, 0x378, v4, v5
	v_lshlrev_b32_e32 v4, 4, v4
	ds_write_b128 v4, v[0:3]
	ds_write_b128 v4, v[76:79] offset:64
.LBB0_33:
	s_or_b32 exec_lo, exec_lo, s1
	s_waitcnt lgkmcnt(0)
	s_barrier
	buffer_gl0_inv
	ds_read_b128 v[0:3], v40 offset:4480
	ds_read_b128 v[4:7], v40 offset:3584
	s_mov_b32 s2, 0xe8584caa
	s_mov_b32 s3, 0xbfebb67a
	;; [unrolled: 1-line block ×10, first 2 shown]
	s_waitcnt lgkmcnt(1)
	v_mul_f64 v[8:9], v[74:75], v[2:3]
	v_fma_f64 v[12:13], v[72:73], v[0:1], v[8:9]
	v_mul_f64 v[0:1], v[74:75], v[0:1]
	v_fma_f64 v[14:15], v[72:73], v[2:3], -v[0:1]
	ds_read_b128 v[0:3], v40 offset:5376
	ds_read_b128 v[8:11], v40 offset:6272
	s_waitcnt lgkmcnt(1)
	v_mul_f64 v[16:17], v[74:75], v[2:3]
	v_fma_f64 v[30:31], v[72:73], v[0:1], v[16:17]
	v_mul_f64 v[0:1], v[74:75], v[0:1]
	v_fma_f64 v[32:33], v[72:73], v[2:3], -v[0:1]
	s_waitcnt lgkmcnt(0)
	v_mul_f64 v[0:1], v[74:75], v[10:11]
	v_fma_f64 v[34:35], v[72:73], v[8:9], v[0:1]
	v_mul_f64 v[0:1], v[74:75], v[8:9]
	v_fma_f64 v[36:37], v[72:73], v[10:11], -v[0:1]
	ds_read_b128 v[0:3], v40 offset:7168
	ds_read_b128 v[8:11], v40 offset:8064
	s_waitcnt lgkmcnt(1)
	v_mul_f64 v[16:17], v[74:75], v[2:3]
	v_fma_f64 v[38:39], v[72:73], v[0:1], v[16:17]
	v_mul_f64 v[0:1], v[74:75], v[0:1]
	v_fma_f64 v[42:43], v[72:73], v[2:3], -v[0:1]
	;; [unrolled: 12-line block ×3, first 2 shown]
	s_waitcnt lgkmcnt(0)
	v_mul_f64 v[0:1], v[70:71], v[10:11]
	v_add_f64 v[24:25], v[14:15], v[18:19]
	v_fma_f64 v[72:73], v[68:69], v[8:9], v[0:1]
	v_mul_f64 v[0:1], v[70:71], v[8:9]
	v_fma_f64 v[74:75], v[68:69], v[10:11], -v[0:1]
	ds_read_b128 v[0:3], v40 offset:10752
	ds_read_b128 v[8:11], v40 offset:11648
	s_waitcnt lgkmcnt(1)
	v_mul_f64 v[22:23], v[70:71], v[2:3]
	v_fma_f64 v[80:81], v[68:69], v[0:1], v[22:23]
	v_mul_f64 v[0:1], v[70:71], v[0:1]
	v_add_f64 v[22:23], v[12:13], v[16:17]
	v_fma_f64 v[82:83], v[68:69], v[2:3], -v[0:1]
	s_waitcnt lgkmcnt(0)
	v_mul_f64 v[0:1], v[70:71], v[10:11]
	v_fma_f64 v[212:213], v[68:69], v[8:9], v[0:1]
	v_mul_f64 v[0:1], v[70:71], v[8:9]
	v_fma_f64 v[214:215], v[68:69], v[10:11], -v[0:1]
	ds_read_b128 v[0:3], v40 offset:12544
	s_waitcnt lgkmcnt(0)
	v_mul_f64 v[8:9], v[70:71], v[2:3]
	v_fma_f64 v[216:217], v[68:69], v[0:1], v[8:9]
	v_mul_f64 v[0:1], v[70:71], v[0:1]
	v_fma_f64 v[68:69], v[68:69], v[2:3], -v[0:1]
	ds_read_b128 v[0:3], v40
	ds_read_b128 v[8:11], v40 offset:896
	s_waitcnt lgkmcnt(1)
	v_fma_f64 v[24:25], v[24:25], -0.5, v[2:3]
	v_add_f64 v[2:3], v[2:3], v[14:15]
	v_fma_f64 v[22:23], v[22:23], -0.5, v[0:1]
	v_add_f64 v[0:1], v[0:1], v[12:13]
	v_add_f64 v[14:15], v[14:15], -v[18:19]
	v_add_f64 v[2:3], v[2:3], v[18:19]
	v_add_f64 v[18:19], v[12:13], -v[16:17]
	v_add_f64 v[0:1], v[0:1], v[16:17]
	v_fma_f64 v[12:13], v[14:15], s[2:3], v[22:23]
	v_fma_f64 v[16:17], v[14:15], s[4:5], v[22:23]
	;; [unrolled: 1-line block ×4, first 2 shown]
	ds_read_b128 v[22:25], v40 offset:1792
	ds_read_b128 v[26:29], v40 offset:2688
	s_waitcnt lgkmcnt(0)
	s_barrier
	buffer_gl0_inv
	buffer_load_dword v51, off, s[28:31], 0 offset:304 ; 4-byte Folded Reload
	s_waitcnt vmcnt(0)
	ds_write_b128 v51, v[0:3]
	ds_write_b128 v51, v[12:15] offset:128
	ds_write_b128 v51, v[16:19] offset:256
	v_add_f64 v[0:1], v[30:31], v[72:73]
	v_add_f64 v[16:17], v[30:31], -v[72:73]
	v_fma_f64 v[12:13], v[0:1], -0.5, v[8:9]
	v_add_f64 v[0:1], v[32:33], v[74:75]
	v_add_f64 v[8:9], v[8:9], v[30:31]
	v_fma_f64 v[14:15], v[0:1], -0.5, v[10:11]
	v_add_f64 v[0:1], v[10:11], v[32:33]
	v_add_f64 v[10:11], v[32:33], -v[74:75]
	v_add_f64 v[2:3], v[0:1], v[74:75]
	v_add_f64 v[0:1], v[8:9], v[72:73]
	v_fma_f64 v[8:9], v[10:11], s[2:3], v[12:13]
	v_fma_f64 v[12:13], v[10:11], s[4:5], v[12:13]
	;; [unrolled: 1-line block ×4, first 2 shown]
	buffer_load_dword v16, off, s[28:31], 0 offset:320 ; 4-byte Folded Reload
	s_waitcnt vmcnt(0)
	ds_write_b128 v16, v[0:3]
	ds_write_b128 v16, v[8:11] offset:128
	ds_write_b128 v16, v[12:15] offset:256
	v_add_f64 v[0:1], v[34:35], v[80:81]
	v_add_f64 v[8:9], v[22:23], v[34:35]
	v_add_f64 v[12:13], v[36:37], -v[82:83]
	v_add_f64 v[16:17], v[34:35], -v[80:81]
	v_fma_f64 v[10:11], v[0:1], -0.5, v[22:23]
	v_add_f64 v[0:1], v[36:37], v[82:83]
	v_add_f64 v[22:23], v[49:50], -v[68:69]
	v_fma_f64 v[14:15], v[0:1], -0.5, v[24:25]
	v_add_f64 v[0:1], v[24:25], v[36:37]
	v_add_f64 v[2:3], v[0:1], v[82:83]
	;; [unrolled: 1-line block ×3, first 2 shown]
	v_fma_f64 v[8:9], v[12:13], s[2:3], v[10:11]
	v_fma_f64 v[12:13], v[12:13], s[4:5], v[10:11]
	;; [unrolled: 1-line block ×4, first 2 shown]
	buffer_load_dword v16, off, s[28:31], 0 offset:316 ; 4-byte Folded Reload
	s_waitcnt vmcnt(0)
	ds_write_b128 v16, v[0:3]
	ds_write_b128 v16, v[8:11] offset:128
	ds_write_b128 v16, v[12:15] offset:256
	v_add_f64 v[0:1], v[38:39], v[212:213]
	v_add_f64 v[8:9], v[26:27], v[38:39]
	v_add_f64 v[12:13], v[42:43], -v[214:215]
	v_add_f64 v[16:17], v[38:39], -v[212:213]
	v_fma_f64 v[10:11], v[0:1], -0.5, v[26:27]
	v_add_f64 v[0:1], v[42:43], v[214:215]
	v_add_f64 v[26:27], v[47:48], -v[216:217]
	v_fma_f64 v[14:15], v[0:1], -0.5, v[28:29]
	v_add_f64 v[0:1], v[28:29], v[42:43]
	v_add_f64 v[2:3], v[0:1], v[214:215]
	;; [unrolled: 1-line block ×3, first 2 shown]
	v_fma_f64 v[8:9], v[12:13], s[2:3], v[10:11]
	v_fma_f64 v[12:13], v[12:13], s[4:5], v[10:11]
	;; [unrolled: 1-line block ×4, first 2 shown]
	v_add_f64 v[16:17], v[47:48], v[216:217]
	v_fma_f64 v[18:19], v[16:17], -0.5, v[4:5]
	v_add_f64 v[16:17], v[49:50], v[68:69]
	v_add_f64 v[4:5], v[4:5], v[47:48]
	v_fma_f64 v[24:25], v[16:17], -0.5, v[6:7]
	v_fma_f64 v[16:17], v[22:23], s[2:3], v[18:19]
	v_fma_f64 v[22:23], v[22:23], s[4:5], v[18:19]
	v_add_f64 v[6:7], v[6:7], v[49:50]
	v_add_f64 v[4:5], v[4:5], v[216:217]
	v_fma_f64 v[18:19], v[26:27], s[4:5], v[24:25]
	v_fma_f64 v[24:25], v[26:27], s[2:3], v[24:25]
	buffer_load_dword v26, off, s[28:31], 0 offset:312 ; 4-byte Folded Reload
	v_add_f64 v[6:7], v[6:7], v[68:69]
	s_mov_b32 s2, 0x4755a5e
	s_mov_b32 s3, 0xbfe2cf23
	;; [unrolled: 1-line block ×4, first 2 shown]
	s_waitcnt vmcnt(0)
	ds_write_b128 v26, v[0:3]
	ds_write_b128 v26, v[8:11] offset:128
	ds_write_b128 v26, v[12:15] offset:256
	buffer_load_dword v0, off, s[28:31], 0 offset:308 ; 4-byte Folded Reload
	s_waitcnt vmcnt(0)
	ds_write_b128 v0, v[4:7]
	ds_write_b128 v0, v[16:19] offset:128
	ds_write_b128 v0, v[22:25] offset:256
	s_waitcnt lgkmcnt(0)
	s_barrier
	buffer_gl0_inv
	ds_read_b128 v[10:13], v40 offset:5376
	ds_read_b128 v[0:3], v40 offset:6272
	;; [unrolled: 1-line block ×6, first 2 shown]
	s_waitcnt lgkmcnt(5)
	v_mul_f64 v[8:9], v[86:87], v[12:13]
	v_mul_f64 v[18:19], v[86:87], v[10:11]
	s_waitcnt lgkmcnt(3)
	v_mul_f64 v[30:31], v[66:67], v[6:7]
	v_mul_f64 v[32:33], v[66:67], v[4:5]
	v_fma_f64 v[10:11], v[84:85], v[10:11], v[8:9]
	v_fma_f64 v[8:9], v[84:85], v[12:13], -v[18:19]
	v_fma_f64 v[12:13], v[64:65], v[4:5], v[30:31]
	v_fma_f64 v[18:19], v[64:65], v[6:7], -v[32:33]
	s_waitcnt lgkmcnt(1)
	v_mul_f64 v[30:31], v[62:63], v[24:25]
	v_mul_f64 v[32:33], v[62:63], v[22:23]
	ds_read_b128 v[4:7], v40 offset:10752
	v_fma_f64 v[34:35], v[60:61], v[22:23], v[30:31]
	v_fma_f64 v[36:37], v[60:61], v[24:25], -v[32:33]
	ds_read_b128 v[22:25], v40 offset:11648
	s_waitcnt lgkmcnt(1)
	v_mul_f64 v[30:31], v[58:59], v[6:7]
	v_mul_f64 v[32:33], v[58:59], v[4:5]
	v_fma_f64 v[38:39], v[56:57], v[4:5], v[30:31]
	v_fma_f64 v[42:43], v[56:57], v[6:7], -v[32:33]
	ds_read_b128 v[4:7], v40 offset:3584
	ds_read_b128 v[30:33], v40 offset:4480
	s_waitcnt lgkmcnt(1)
	v_mul_f64 v[47:48], v[98:99], v[6:7]
	v_fma_f64 v[47:48], v[96:97], v[4:5], v[47:48]
	v_mul_f64 v[4:5], v[98:99], v[4:5]
	v_fma_f64 v[49:50], v[96:97], v[6:7], -v[4:5]
	v_mul_f64 v[4:5], v[90:91], v[2:3]
	v_mul_f64 v[6:7], v[90:91], v[0:1]
	v_add_f64 v[90:91], v[42:43], -v[18:19]
	v_fma_f64 v[56:57], v[88:89], v[0:1], v[4:5]
	v_fma_f64 v[58:59], v[88:89], v[2:3], -v[6:7]
	ds_read_b128 v[0:3], v40 offset:8960
	ds_read_b128 v[4:7], v40 offset:9856
	v_add_f64 v[88:89], v[12:13], -v[38:39]
	s_waitcnt lgkmcnt(1)
	v_mul_f64 v[60:61], v[102:103], v[2:3]
	v_fma_f64 v[60:61], v[100:101], v[0:1], v[60:61]
	v_mul_f64 v[0:1], v[102:103], v[0:1]
	v_fma_f64 v[62:63], v[100:101], v[2:3], -v[0:1]
	v_mul_f64 v[0:1], v[94:95], v[24:25]
	v_mul_f64 v[2:3], v[94:95], v[22:23]
	v_fma_f64 v[64:65], v[92:93], v[22:23], v[0:1]
	v_fma_f64 v[66:67], v[92:93], v[24:25], -v[2:3]
	v_mul_f64 v[0:1], v[114:115], v[32:33]
	v_mul_f64 v[2:3], v[114:115], v[30:31]
	;; [unrolled: 1-line block ×4, first 2 shown]
	v_fma_f64 v[68:69], v[112:113], v[30:31], v[0:1]
	v_fma_f64 v[70:71], v[112:113], v[32:33], -v[2:3]
	ds_read_b128 v[0:3], v40 offset:12544
	s_waitcnt lgkmcnt(1)
	v_mul_f64 v[30:31], v[118:119], v[6:7]
	v_mul_f64 v[32:33], v[118:119], v[4:5]
	v_fma_f64 v[72:73], v[108:109], v[14:15], v[22:23]
	v_fma_f64 v[74:75], v[108:109], v[16:17], -v[24:25]
	v_add_f64 v[22:23], v[10:11], v[12:13]
	v_add_f64 v[24:25], v[34:35], v[38:39]
	s_waitcnt lgkmcnt(0)
	v_mul_f64 v[14:15], v[106:107], v[2:3]
	v_mul_f64 v[16:17], v[106:107], v[0:1]
	v_fma_f64 v[80:81], v[116:117], v[4:5], v[30:31]
	v_fma_f64 v[82:83], v[116:117], v[6:7], -v[32:33]
	ds_read_b128 v[4:7], v40
	v_add_f64 v[30:31], v[8:9], v[18:19]
	v_add_f64 v[32:33], v[36:37], v[42:43]
	v_fma_f64 v[84:85], v[104:105], v[0:1], v[14:15]
	v_fma_f64 v[86:87], v[104:105], v[2:3], -v[16:17]
	ds_read_b128 v[0:3], v40 offset:896
	s_waitcnt lgkmcnt(1)
	v_add_f64 v[14:15], v[4:5], v[34:35]
	v_fma_f64 v[16:17], v[22:23], -0.5, v[4:5]
	v_fma_f64 v[4:5], v[24:25], -0.5, v[4:5]
	v_add_f64 v[22:23], v[6:7], v[36:37]
	v_fma_f64 v[24:25], v[30:31], -0.5, v[6:7]
	v_fma_f64 v[6:7], v[32:33], -0.5, v[6:7]
	v_add_f64 v[30:31], v[34:35], -v[10:11]
	v_add_f64 v[32:33], v[38:39], -v[12:13]
	s_waitcnt lgkmcnt(0)
	s_barrier
	buffer_gl0_inv
	v_add_f64 v[14:15], v[14:15], v[10:11]
	v_add_f64 v[30:31], v[30:31], v[32:33]
	v_add_f64 v[32:33], v[10:11], -v[34:35]
	v_add_f64 v[10:11], v[10:11], -v[12:13]
	v_add_f64 v[12:13], v[14:15], v[12:13]
	v_add_f64 v[14:15], v[22:23], v[8:9]
	v_add_f64 v[22:23], v[8:9], -v[18:19]
	v_add_f64 v[32:33], v[32:33], v[88:89]
	v_add_f64 v[88:89], v[36:37], -v[8:9]
	v_add_f64 v[8:9], v[8:9], -v[36:37]
	v_fma_f64 v[92:93], v[10:11], s[12:13], v[6:7]
	v_fma_f64 v[6:7], v[10:11], s[14:15], v[6:7]
	v_add_f64 v[14:15], v[14:15], v[18:19]
	v_add_f64 v[18:19], v[18:19], -v[42:43]
	v_add_f64 v[88:89], v[88:89], v[90:91]
	v_add_f64 v[90:91], v[8:9], v[18:19]
	v_add_f64 v[8:9], v[36:37], -v[42:43]
	v_fma_f64 v[36:37], v[22:23], s[14:15], v[4:5]
	v_fma_f64 v[4:5], v[22:23], s[12:13], v[4:5]
	;; [unrolled: 1-line block ×6, first 2 shown]
	v_add_f64 v[4:5], v[12:13], v[38:39]
	v_fma_f64 v[18:19], v[22:23], s[2:3], v[18:19]
	v_fma_f64 v[16:17], v[22:23], s[4:5], v[16:17]
	v_add_f64 v[22:23], v[34:35], -v[38:39]
	v_add_f64 v[38:39], v[56:57], v[60:61]
	v_fma_f64 v[8:9], v[30:31], s[16:17], v[18:19]
	v_fma_f64 v[12:13], v[30:31], s[16:17], v[16:17]
	v_fma_f64 v[34:35], v[22:23], s[14:15], v[24:25]
	v_fma_f64 v[24:25], v[22:23], s[12:13], v[24:25]
	v_fma_f64 v[92:93], v[22:23], s[4:5], v[92:93]
	v_fma_f64 v[96:97], v[22:23], s[2:3], v[6:7]
	v_add_f64 v[30:31], v[58:59], v[62:63]
	v_fma_f64 v[16:17], v[32:33], s[16:17], v[36:37]
	v_fma_f64 v[22:23], v[32:33], s[16:17], v[94:95]
	v_add_f64 v[32:33], v[0:1], v[47:48]
	v_add_f64 v[6:7], v[14:15], v[42:43]
	;; [unrolled: 1-line block ×3, first 2 shown]
	v_fma_f64 v[38:39], v[38:39], -0.5, v[0:1]
	v_add_f64 v[42:43], v[64:65], -v[60:61]
	v_fma_f64 v[34:35], v[10:11], s[4:5], v[34:35]
	v_fma_f64 v[24:25], v[10:11], s[2:3], v[24:25]
	;; [unrolled: 1-line block ×3, first 2 shown]
	v_add_f64 v[32:33], v[32:33], v[56:57]
	v_fma_f64 v[36:37], v[36:37], -0.5, v[2:3]
	v_fma_f64 v[10:11], v[88:89], s[16:17], v[34:35]
	v_add_f64 v[34:35], v[47:48], v[64:65]
	v_fma_f64 v[14:15], v[88:89], s[16:17], v[24:25]
	v_fma_f64 v[24:25], v[90:91], s[16:17], v[96:97]
	v_add_f64 v[90:91], v[58:59], -v[62:63]
	v_fma_f64 v[0:1], v[34:35], -0.5, v[0:1]
	v_fma_f64 v[34:35], v[30:31], -0.5, v[2:3]
	v_add_f64 v[30:31], v[47:48], -v[56:57]
	v_add_f64 v[2:3], v[2:3], v[49:50]
	v_fma_f64 v[94:95], v[90:91], s[14:15], v[0:1]
	v_fma_f64 v[0:1], v[90:91], s[12:13], v[0:1]
	v_add_f64 v[42:43], v[30:31], v[42:43]
	v_add_f64 v[30:31], v[32:33], v[60:61]
	v_add_f64 v[32:33], v[56:57], -v[47:48]
	v_add_f64 v[56:57], v[56:57], -v[60:61]
	;; [unrolled: 1-line block ×3, first 2 shown]
	v_add_f64 v[2:3], v[2:3], v[58:59]
	v_add_f64 v[47:48], v[47:48], -v[64:65]
	v_add_f64 v[30:31], v[30:31], v[64:65]
	v_fma_f64 v[64:65], v[56:57], s[12:13], v[36:37]
	v_add_f64 v[88:89], v[32:33], v[60:61]
	v_add_f64 v[60:61], v[49:50], -v[66:67]
	v_add_f64 v[2:3], v[2:3], v[62:63]
	v_fma_f64 v[36:37], v[56:57], s[14:15], v[36:37]
	v_fma_f64 v[64:65], v[47:48], s[4:5], v[64:65]
	;; [unrolled: 1-line block ×7, first 2 shown]
	v_add_f64 v[90:91], v[49:50], -v[58:59]
	v_add_f64 v[49:50], v[58:59], -v[49:50]
	v_add_f64 v[32:33], v[2:3], v[66:67]
	v_add_f64 v[2:3], v[66:67], -v[62:63]
	v_add_f64 v[58:59], v[62:63], -v[66:67]
	v_fma_f64 v[62:63], v[47:48], s[14:15], v[34:35]
	v_fma_f64 v[34:35], v[47:48], s[12:13], v[34:35]
	;; [unrolled: 1-line block ×3, first 2 shown]
	v_add_f64 v[2:3], v[90:91], v[2:3]
	v_add_f64 v[49:50], v[49:50], v[58:59]
	v_fma_f64 v[62:63], v[56:57], s[4:5], v[62:63]
	v_fma_f64 v[66:67], v[56:57], s[2:3], v[34:35]
	;; [unrolled: 1-line block ×4, first 2 shown]
	v_add_f64 v[38:39], v[80:81], -v[84:85]
	v_fma_f64 v[34:35], v[42:43], s[16:17], v[92:93]
	v_add_f64 v[42:43], v[74:75], -v[70:71]
	v_add_f64 v[92:93], v[70:71], -v[86:87]
	v_fma_f64 v[36:37], v[2:3], s[16:17], v[62:63]
	v_fma_f64 v[58:59], v[2:3], s[16:17], v[66:67]
	v_add_f64 v[2:3], v[72:73], -v[68:69]
	v_fma_f64 v[60:61], v[88:89], s[16:17], v[90:91]
	v_fma_f64 v[62:63], v[49:50], s[16:17], v[64:65]
	;; [unrolled: 3-line block ×3, first 2 shown]
	v_add_f64 v[47:48], v[72:73], v[80:81]
	v_add_f64 v[49:50], v[74:75], v[82:83]
	v_add_f64 v[88:89], v[74:75], -v[82:83]
	v_add_f64 v[0:1], v[2:3], v[38:39]
	v_add_f64 v[2:3], v[68:69], v[84:85]
	;; [unrolled: 1-line block ×4, first 2 shown]
	v_fma_f64 v[47:48], v[47:48], -0.5, v[26:27]
	v_fma_f64 v[49:50], v[49:50], -0.5, v[28:29]
	;; [unrolled: 1-line block ×3, first 2 shown]
	v_add_f64 v[26:27], v[26:27], v[68:69]
	v_fma_f64 v[42:43], v[42:43], -0.5, v[28:29]
	v_add_f64 v[28:29], v[28:29], v[70:71]
	v_add_f64 v[70:71], v[70:71], -v[74:75]
	v_fma_f64 v[94:95], v[92:93], s[12:13], v[47:48]
	v_fma_f64 v[47:48], v[92:93], s[14:15], v[47:48]
	;; [unrolled: 1-line block ×3, first 2 shown]
	v_add_f64 v[26:27], v[26:27], v[72:73]
	v_fma_f64 v[2:3], v[88:89], s[12:13], v[2:3]
	v_add_f64 v[28:29], v[28:29], v[74:75]
	v_add_f64 v[74:75], v[72:73], -v[80:81]
	v_add_f64 v[72:73], v[68:69], -v[72:73]
	;; [unrolled: 1-line block ×3, first 2 shown]
	v_fma_f64 v[47:48], v[88:89], s[4:5], v[47:48]
	v_fma_f64 v[90:91], v[92:93], s[2:3], v[90:91]
	v_add_f64 v[98:99], v[26:27], v[80:81]
	v_add_f64 v[26:27], v[84:85], -v[80:81]
	v_fma_f64 v[2:3], v[92:93], s[4:5], v[2:3]
	v_fma_f64 v[80:81], v[88:89], s[2:3], v[94:95]
	;; [unrolled: 1-line block ×6, first 2 shown]
	v_add_f64 v[88:89], v[28:29], v[82:83]
	v_add_f64 v[100:101], v[72:73], v[26:27]
	v_add_f64 v[26:27], v[86:87], -v[82:83]
	v_add_f64 v[72:73], v[98:99], v[84:85]
	v_fma_f64 v[92:93], v[68:69], s[4:5], v[92:93]
	v_fma_f64 v[42:43], v[68:69], s[2:3], v[42:43]
	;; [unrolled: 1-line block ×5, first 2 shown]
	v_add_f64 v[94:95], v[70:71], v[26:27]
	v_fma_f64 v[70:71], v[74:75], s[4:5], v[96:97]
	v_add_f64 v[74:75], v[88:89], v[86:87]
	v_fma_f64 v[26:27], v[0:1], s[16:17], v[90:91]
	v_fma_f64 v[28:29], v[38:39], s[16:17], v[92:93]
	;; [unrolled: 1-line block ×6, first 2 shown]
	ds_write_b128 v44, v[4:7]
	ds_write_b128 v44, v[8:11] offset:384
	ds_write_b128 v44, v[16:19] offset:768
	ds_write_b128 v44, v[22:25] offset:1152
	ds_write_b128 v44, v[12:15] offset:1536
	ds_write_b128 v45, v[30:33]
	ds_write_b128 v45, v[34:37] offset:384
	ds_write_b128 v45, v[60:63] offset:768
	ds_write_b128 v45, v[64:67] offset:1152
	ds_write_b128 v45, v[56:59] offset:1536
	;; [unrolled: 5-line block ×3, first 2 shown]
	s_waitcnt lgkmcnt(0)
	s_barrier
	buffer_gl0_inv
	ds_read_b128 v[8:11], v40
	ds_read_b128 v[4:7], v40 offset:896
	ds_read_b128 v[84:87], v40 offset:1920
	ds_read_b128 v[60:63], v40 offset:2816
	ds_read_b128 v[88:91], v40 offset:3840
	ds_read_b128 v[56:59], v40 offset:4736
	ds_read_b128 v[72:75], v40 offset:5760
	ds_read_b128 v[12:15], v40 offset:6656
	ds_read_b128 v[80:83], v40 offset:7680
	ds_read_b128 v[16:19], v40 offset:8576
	ds_read_b128 v[92:95], v40 offset:9600
	ds_read_b128 v[64:67], v40 offset:10496
	ds_read_b128 v[96:99], v40 offset:11520
	ds_read_b128 v[68:71], v40 offset:12416
	s_and_saveexec_b32 s1, s0
	s_cbranch_execz .LBB0_35
; %bb.34:
	ds_read_b128 v[0:3], v40 offset:1792
	ds_read_b128 v[76:79], v40 offset:3712
	;; [unrolled: 1-line block ×7, first 2 shown]
.LBB0_35:
	s_or_b32 exec_lo, exec_lo, s1
	s_waitcnt lgkmcnt(11)
	v_mul_f64 v[22:23], v[182:183], v[86:87]
	v_mul_f64 v[24:25], v[182:183], v[84:85]
	s_waitcnt lgkmcnt(9)
	v_mul_f64 v[26:27], v[178:179], v[90:91]
	v_mul_f64 v[28:29], v[178:179], v[88:89]
	;; [unrolled: 3-line block ×3, first 2 shown]
	v_mul_f64 v[34:35], v[190:191], v[94:95]
	v_mul_f64 v[36:37], v[190:191], v[92:93]
	;; [unrolled: 1-line block ×8, first 2 shown]
	s_waitcnt lgkmcnt(0)
	v_mul_f64 v[100:101], v[174:175], v[70:71]
	v_mul_f64 v[102:103], v[174:175], v[68:69]
	s_mov_b32 s12, 0x37e14327
	s_mov_b32 s2, 0x36b3c0b5
	;; [unrolled: 1-line block ×6, first 2 shown]
	v_fma_f64 v[22:23], v[180:181], v[84:85], v[22:23]
	v_fma_f64 v[24:25], v[180:181], v[86:87], -v[24:25]
	v_fma_f64 v[26:27], v[176:177], v[88:89], v[26:27]
	v_fma_f64 v[28:29], v[176:177], v[90:91], -v[28:29]
	;; [unrolled: 2-line block ×4, first 2 shown]
	v_mul_f64 v[84:85], v[162:163], v[58:59]
	v_mul_f64 v[86:87], v[162:163], v[56:57]
	;; [unrolled: 1-line block ×4, first 2 shown]
	v_fma_f64 v[38:39], v[156:157], v[72:73], v[38:39]
	v_fma_f64 v[44:45], v[152:153], v[80:81], v[44:45]
	v_mul_f64 v[88:89], v[150:151], v[14:15]
	v_mul_f64 v[90:91], v[150:151], v[12:13]
	;; [unrolled: 1-line block ×4, first 2 shown]
	v_fma_f64 v[42:43], v[156:157], v[74:75], -v[42:43]
	v_fma_f64 v[46:47], v[152:153], v[82:83], -v[46:47]
	v_fma_f64 v[48:49], v[164:165], v[60:61], v[48:49]
	v_fma_f64 v[50:51], v[164:165], v[62:63], -v[50:51]
	v_fma_f64 v[60:61], v[172:173], v[68:69], v[100:101]
	v_fma_f64 v[62:63], v[172:173], v[70:71], -v[102:103]
	s_mov_b32 s16, 0x5476071b
	s_mov_b32 s17, 0x3fe77f67
	v_add_f64 v[72:73], v[22:23], v[30:31]
	v_add_f64 v[74:75], v[24:25], v[32:33]
	;; [unrolled: 1-line block ×4, first 2 shown]
	v_fma_f64 v[56:57], v[160:161], v[56:57], v[84:85]
	v_fma_f64 v[58:59], v[160:161], v[58:59], -v[86:87]
	v_fma_f64 v[64:65], v[168:169], v[64:65], v[96:97]
	v_fma_f64 v[66:67], v[168:169], v[66:67], -v[98:99]
	v_add_f64 v[26:27], v[26:27], -v[34:35]
	v_add_f64 v[68:69], v[38:39], v[44:45]
	v_fma_f64 v[12:13], v[148:149], v[12:13], v[88:89]
	v_fma_f64 v[14:15], v[148:149], v[14:15], -v[90:91]
	v_fma_f64 v[16:17], v[144:145], v[16:17], v[92:93]
	v_fma_f64 v[18:19], v[144:145], v[18:19], -v[94:95]
	v_add_f64 v[28:29], v[28:29], -v[36:37]
	v_add_f64 v[70:71], v[42:43], v[46:47]
	v_add_f64 v[34:35], v[44:45], -v[38:39]
	v_add_f64 v[36:37], v[46:47], -v[42:43]
	;; [unrolled: 1-line block ×4, first 2 shown]
	v_add_f64 v[30:31], v[48:49], v[60:61]
	v_add_f64 v[32:33], v[50:51], v[62:63]
	v_add_f64 v[38:39], v[48:49], -v[60:61]
	v_add_f64 v[42:43], v[50:51], -v[62:63]
	v_add_f64 v[84:85], v[80:81], v[72:73]
	v_add_f64 v[86:87], v[82:83], v[74:75]
	s_mov_b32 s21, 0xbfe77f67
	s_mov_b32 s20, s16
	v_add_f64 v[44:45], v[56:57], v[64:65]
	v_add_f64 v[46:47], v[58:59], v[66:67]
	v_add_f64 v[56:57], v[56:57], -v[64:65]
	v_add_f64 v[48:49], v[72:73], -v[68:69]
	;; [unrolled: 1-line block ×4, first 2 shown]
	v_add_f64 v[66:67], v[12:13], v[16:17]
	v_add_f64 v[12:13], v[16:17], -v[12:13]
	v_add_f64 v[72:73], v[80:81], -v[72:73]
	v_add_f64 v[50:51], v[74:75], -v[70:71]
	v_add_f64 v[62:63], v[70:71], -v[82:83]
	v_add_f64 v[16:17], v[34:35], -v[26:27]
	v_add_f64 v[74:75], v[82:83], -v[74:75]
	v_add_f64 v[80:81], v[34:35], v[26:27]
	v_add_f64 v[82:83], v[36:37], v[28:29]
	v_add_f64 v[26:27], v[26:27], -v[22:23]
	v_add_f64 v[34:35], v[22:23], -v[34:35]
	s_mov_b32 s4, 0x429ad128
	v_add_f64 v[64:65], v[68:69], v[84:85]
	v_add_f64 v[68:69], v[70:71], v[86:87]
	;; [unrolled: 1-line block ×3, first 2 shown]
	v_add_f64 v[14:15], v[18:19], -v[14:15]
	v_add_f64 v[84:85], v[44:45], v[30:31]
	v_add_f64 v[86:87], v[46:47], v[32:33]
	v_add_f64 v[18:19], v[36:37], -v[28:29]
	v_mul_f64 v[48:49], v[48:49], s[12:13]
	v_mul_f64 v[88:89], v[60:61], s[2:3]
	v_add_f64 v[28:29], v[28:29], -v[24:25]
	v_add_f64 v[92:93], v[30:31], -v[66:67]
	;; [unrolled: 1-line block ×4, first 2 shown]
	v_mul_f64 v[50:51], v[50:51], s[12:13]
	v_mul_f64 v[90:91], v[62:63], s[2:3]
	;; [unrolled: 1-line block ×3, first 2 shown]
	s_mov_b32 s5, 0xbfebfeb5
	v_add_f64 v[36:37], v[24:25], -v[36:37]
	v_add_f64 v[22:23], v[80:81], v[22:23]
	v_add_f64 v[24:25], v[82:83], v[24:25]
	v_mul_f64 v[80:81], v[26:27], s[4:5]
	s_mov_b32 s22, 0xb247c609
	v_add_f64 v[8:9], v[8:9], v[64:65]
	v_add_f64 v[10:11], v[10:11], v[68:69]
	v_add_f64 v[94:95], v[32:33], -v[70:71]
	v_add_f64 v[98:99], v[70:71], -v[46:47]
	;; [unrolled: 1-line block ×3, first 2 shown]
	v_add_f64 v[66:67], v[66:67], v[84:85]
	v_add_f64 v[70:71], v[70:71], v[86:87]
	v_fma_f64 v[60:61], v[60:61], s[2:3], v[48:49]
	v_fma_f64 v[84:85], v[72:73], s[16:17], -v[88:89]
	v_fma_f64 v[48:49], v[72:73], s[20:21], -v[48:49]
	v_add_f64 v[72:73], v[56:57], -v[38:39]
	v_add_f64 v[88:89], v[58:59], -v[42:43]
	v_mul_f64 v[18:19], v[18:19], s[18:19]
	v_mul_f64 v[82:83], v[28:29], s[4:5]
	s_mov_b32 s23, 0xbfd5d0dc
	s_mov_b32 s14, 0xaaaaaaaa
	;; [unrolled: 1-line block ×3, first 2 shown]
	v_fma_f64 v[62:63], v[62:63], s[2:3], v[50:51]
	v_fma_f64 v[86:87], v[74:75], s[16:17], -v[90:91]
	v_fma_f64 v[50:51], v[74:75], s[20:21], -v[50:51]
	v_fma_f64 v[74:75], v[34:35], s[22:23], v[16:17]
	v_fma_f64 v[16:17], v[26:27], s[4:5], -v[16:17]
	v_add_f64 v[26:27], v[44:45], -v[30:31]
	v_add_f64 v[30:31], v[46:47], -v[32:33]
	v_add_f64 v[32:33], v[12:13], v[56:57]
	v_add_f64 v[44:45], v[14:15], v[58:59]
	v_mul_f64 v[46:47], v[92:93], s[12:13]
	v_add_f64 v[4:5], v[4:5], v[66:67]
	v_add_f64 v[6:7], v[6:7], v[70:71]
	v_mul_f64 v[56:57], v[94:95], s[12:13]
	v_mul_f64 v[58:59], v[96:97], s[2:3]
	;; [unrolled: 1-line block ×3, first 2 shown]
	v_add_f64 v[12:13], v[38:39], -v[12:13]
	v_add_f64 v[14:15], v[42:43], -v[14:15]
	v_mul_f64 v[94:95], v[102:103], s[18:19]
	v_mul_f64 v[100:101], v[100:101], s[18:19]
	;; [unrolled: 1-line block ×4, first 2 shown]
	v_fma_f64 v[64:65], v[64:65], s[14:15], v[8:9]
	v_fma_f64 v[68:69], v[68:69], s[14:15], v[10:11]
	s_mov_b32 s25, 0x3fd5d0dc
	s_mov_b32 s24, s22
	v_fma_f64 v[90:91], v[36:37], s[22:23], v[18:19]
	v_fma_f64 v[18:19], v[28:29], s[4:5], -v[18:19]
	v_fma_f64 v[28:29], v[34:35], s[24:25], -v[80:81]
	v_fma_f64 v[34:35], v[36:37], s[24:25], -v[82:83]
	v_add_f64 v[32:33], v[32:33], v[38:39]
	v_add_f64 v[38:39], v[44:45], v[42:43]
	s_mov_b32 s26, 0x37c3f68c
	v_fma_f64 v[42:43], v[66:67], s[14:15], v[4:5]
	v_fma_f64 v[44:45], v[70:71], s[14:15], v[6:7]
	;; [unrolled: 1-line block ×4, first 2 shown]
	v_fma_f64 v[58:59], v[26:27], s[16:17], -v[58:59]
	v_fma_f64 v[82:83], v[30:31], s[16:17], -v[92:93]
	;; [unrolled: 1-line block ×4, first 2 shown]
	v_fma_f64 v[46:47], v[14:15], s[22:23], v[94:95]
	v_fma_f64 v[56:57], v[12:13], s[22:23], v[100:101]
	v_fma_f64 v[14:15], v[14:15], s[24:25], -v[102:103]
	v_fma_f64 v[12:13], v[12:13], s[24:25], -v[104:105]
	v_add_f64 v[36:37], v[60:61], v[64:65]
	v_add_f64 v[60:61], v[62:63], v[68:69]
	;; [unrolled: 1-line block ×3, first 2 shown]
	v_fma_f64 v[84:85], v[88:89], s[4:5], -v[94:95]
	v_fma_f64 v[72:73], v[72:73], s[4:5], -v[100:101]
	s_mov_b32 s27, 0xbfdc38aa
	v_add_f64 v[80:81], v[86:87], v[68:69]
	v_add_f64 v[48:49], v[48:49], v[64:65]
	v_add_f64 v[50:51], v[50:51], v[68:69]
	v_fma_f64 v[64:65], v[24:25], s[26:27], v[90:91]
	v_fma_f64 v[68:69], v[22:23], s[26:27], v[74:75]
	;; [unrolled: 1-line block ×6, first 2 shown]
	v_add_f64 v[88:89], v[66:67], v[42:43]
	v_add_f64 v[90:91], v[70:71], v[44:45]
	;; [unrolled: 1-line block ×3, first 2 shown]
	v_fma_f64 v[46:47], v[38:39], s[26:27], v[46:47]
	v_fma_f64 v[94:95], v[32:33], s[26:27], v[56:57]
	v_add_f64 v[82:83], v[26:27], v[42:43]
	v_add_f64 v[92:93], v[30:31], v[44:45]
	v_fma_f64 v[96:97], v[38:39], s[26:27], v[14:15]
	v_fma_f64 v[98:99], v[32:33], s[26:27], v[12:13]
	v_add_f64 v[66:67], v[58:59], v[42:43]
	v_fma_f64 v[38:39], v[38:39], s[26:27], v[84:85]
	v_fma_f64 v[72:73], v[32:33], s[26:27], v[72:73]
	v_add_f64 v[12:13], v[64:65], v[36:37]
	v_add_f64 v[14:15], v[60:61], -v[68:69]
	v_add_f64 v[16:17], v[34:35], v[48:49]
	v_add_f64 v[18:19], v[50:51], -v[74:75]
	v_add_f64 v[22:23], v[62:63], -v[28:29]
	v_add_f64 v[24:25], v[86:87], v[80:81]
	v_add_f64 v[26:27], v[28:29], v[62:63]
	v_add_f64 v[28:29], v[80:81], -v[86:87]
	v_add_f64 v[30:31], v[48:49], -v[34:35]
	v_add_f64 v[32:33], v[74:75], v[50:51]
	v_add_f64 v[34:35], v[36:37], -v[64:65]
	v_add_f64 v[36:37], v[68:69], v[60:61]
	v_add_f64 v[42:43], v[46:47], v[88:89]
	v_add_f64 v[44:45], v[90:91], -v[94:95]
	v_add_f64 v[56:57], v[96:97], v[82:83]
	v_add_f64 v[58:59], v[92:93], -v[98:99]
	v_add_f64 v[60:61], v[66:67], -v[38:39]
	v_add_f64 v[62:63], v[72:73], v[70:71]
	v_add_f64 v[64:65], v[38:39], v[66:67]
	v_add_f64 v[66:67], v[70:71], -v[72:73]
	v_add_f64 v[68:69], v[82:83], -v[96:97]
	v_add_f64 v[70:71], v[98:99], v[92:93]
	v_add_f64 v[72:73], v[88:89], -v[46:47]
	v_add_f64 v[74:75], v[94:95], v[90:91]
	ds_write_b128 v40, v[8:11]
	ds_write_b128 v40, v[12:15] offset:1920
	ds_write_b128 v40, v[16:19] offset:3840
	;; [unrolled: 1-line block ×13, first 2 shown]
	s_and_saveexec_b32 s1, s0
	s_cbranch_execz .LBB0_37
; %bb.36:
	v_mul_f64 v[4:5], v[138:139], v[208:209]
	v_mul_f64 v[6:7], v[134:135], v[76:77]
	;; [unrolled: 1-line block ×12, first 2 shown]
	v_fma_f64 v[4:5], v[136:137], v[210:211], -v[4:5]
	v_fma_f64 v[6:7], v[132:133], v[78:79], -v[6:7]
	;; [unrolled: 1-line block ×4, first 2 shown]
	v_fma_f64 v[12:13], v[132:133], v[76:77], v[12:13]
	v_fma_f64 v[14:15], v[136:137], v[208:209], v[14:15]
	;; [unrolled: 1-line block ×6, first 2 shown]
	v_fma_f64 v[26:27], v[124:125], v[198:199], -v[26:27]
	v_fma_f64 v[28:29], v[120:121], v[202:203], -v[28:29]
	v_add_f64 v[30:31], v[6:7], v[4:5]
	v_add_f64 v[4:5], v[6:7], -v[4:5]
	v_add_f64 v[32:33], v[10:11], v[8:9]
	v_add_f64 v[8:9], v[10:11], -v[8:9]
	;; [unrolled: 2-line block ×4, first 2 shown]
	v_add_f64 v[38:39], v[22:23], -v[24:25]
	v_add_f64 v[22:23], v[24:25], v[22:23]
	v_add_f64 v[18:19], v[26:27], v[28:29]
	v_add_f64 v[24:25], v[28:29], -v[26:27]
	v_add_f64 v[14:15], v[32:33], v[30:31]
	v_add_f64 v[46:47], v[8:9], -v[4:5]
	;; [unrolled: 2-line block ×3, first 2 shown]
	v_add_f64 v[10:11], v[38:39], -v[16:17]
	v_add_f64 v[28:29], v[34:35], -v[22:23]
	;; [unrolled: 1-line block ×5, first 2 shown]
	v_add_f64 v[16:17], v[38:39], v[16:17]
	v_add_f64 v[8:9], v[24:25], v[8:9]
	v_add_f64 v[24:25], v[4:5], -v[24:25]
	v_add_f64 v[30:31], v[32:33], -v[30:31]
	;; [unrolled: 1-line block ×3, first 2 shown]
	v_add_f64 v[14:15], v[18:19], v[14:15]
	v_add_f64 v[18:19], v[18:19], -v[32:33]
	v_mul_f64 v[50:51], v[46:47], s[4:5]
	v_add_f64 v[6:7], v[22:23], v[6:7]
	v_add_f64 v[22:23], v[22:23], -v[36:37]
	v_mul_f64 v[10:11], v[10:11], s[18:19]
	v_mul_f64 v[28:29], v[28:29], s[12:13]
	;; [unrolled: 1-line block ×5, first 2 shown]
	v_add_f64 v[12:13], v[16:17], v[12:13]
	v_add_f64 v[4:5], v[8:9], v[4:5]
	;; [unrolled: 1-line block ×3, first 2 shown]
	v_mul_f64 v[32:33], v[18:19], s[2:3]
	v_add_f64 v[0:1], v[0:1], v[6:7]
	v_mul_f64 v[36:37], v[22:23], s[2:3]
	v_fma_f64 v[8:9], v[48:49], s[22:23], v[10:11]
	v_fma_f64 v[10:11], v[42:43], s[4:5], -v[10:11]
	v_fma_f64 v[16:17], v[18:19], s[2:3], v[26:27]
	v_fma_f64 v[18:19], v[22:23], s[2:3], v[28:29]
	v_fma_f64 v[22:23], v[48:49], s[24:25], -v[38:39]
	v_fma_f64 v[26:27], v[30:31], s[20:21], -v[26:27]
	;; [unrolled: 1-line block ×4, first 2 shown]
	v_fma_f64 v[14:15], v[14:15], s[14:15], v[2:3]
	v_fma_f64 v[30:31], v[30:31], s[16:17], -v[32:33]
	v_fma_f64 v[32:33], v[24:25], s[22:23], v[44:45]
	v_fma_f64 v[24:25], v[24:25], s[24:25], -v[50:51]
	;; [unrolled: 2-line block ×3, first 2 shown]
	v_fma_f64 v[8:9], v[12:13], s[26:27], v[8:9]
	v_fma_f64 v[22:23], v[12:13], s[26:27], v[22:23]
	;; [unrolled: 1-line block ×3, first 2 shown]
	v_add_f64 v[16:17], v[16:17], v[14:15]
	v_add_f64 v[26:27], v[26:27], v[14:15]
	v_fma_f64 v[32:33], v[4:5], s[26:27], v[32:33]
	v_fma_f64 v[36:37], v[4:5], s[26:27], v[24:25]
	;; [unrolled: 1-line block ×3, first 2 shown]
	v_add_f64 v[38:39], v[18:19], v[6:7]
	v_add_f64 v[42:43], v[28:29], v[6:7]
	;; [unrolled: 1-line block ×4, first 2 shown]
	v_add_f64 v[28:29], v[16:17], -v[8:9]
	v_add_f64 v[10:11], v[22:23], v[26:27]
	v_add_f64 v[24:25], v[26:27], -v[22:23]
	v_add_f64 v[6:7], v[8:9], v[16:17]
	v_add_f64 v[26:27], v[32:33], v[38:39]
	;; [unrolled: 1-line block ×4, first 2 shown]
	v_add_f64 v[16:17], v[34:35], -v[4:5]
	v_add_f64 v[14:15], v[30:31], -v[12:13]
	v_add_f64 v[12:13], v[4:5], v[34:35]
	v_add_f64 v[8:9], v[42:43], -v[36:37]
	v_add_f64 v[4:5], v[38:39], -v[32:33]
	ds_write_b128 v40, v[0:3] offset:1792
	ds_write_b128 v40, v[26:29] offset:3712
	;; [unrolled: 1-line block ×7, first 2 shown]
.LBB0_37:
	s_or_b32 exec_lo, exec_lo, s1
	s_waitcnt lgkmcnt(0)
	s_barrier
	buffer_gl0_inv
	ds_read_b128 v[0:3], v40
	ds_read_b128 v[4:7], v40 offset:6720
	ds_read_b128 v[8:11], v40 offset:896
	ds_read_b128 v[12:15], v40 offset:7616
	s_clause 0x1
	buffer_load_dword v16, off, s[28:31], 0 offset:4
	buffer_load_dword v17, off, s[28:31], 0 offset:8
	v_mad_u64_u32 v[36:37], null, s8, v41, 0
	s_mul_i32 s0, s9, 0x1a4
	s_mul_hi_u32 s1, s8, 0x1a4
	s_mov_b32 s2, 0x13813814
	s_add_i32 s5, s1, s0
	s_mov_b32 s3, 0x3f538138
	s_mul_i32 s4, s8, 0x1a4
	s_mul_i32 s1, s9, 0xfffffe94
	s_lshl_b64 s[4:5], s[4:5], 4
	s_waitcnt vmcnt(1)
	v_mov_b32_e32 v31, v16
	s_waitcnt vmcnt(0)
	ds_read_b128 v[16:19], v40 offset:1792
	ds_read_b128 v[22:25], v40 offset:5376
	s_clause 0x7
	buffer_load_dword v64, off, s[28:31], 0 offset:20
	buffer_load_dword v65, off, s[28:31], 0 offset:24
	;; [unrolled: 1-line block ×8, first 2 shown]
	v_mad_u64_u32 v[34:35], null, s10, v31, 0
	v_mov_b32_e32 v30, v35
	v_mov_b32_e32 v35, v37
	v_mad_u64_u32 v[60:61], null, s11, v31, v[30:31]
	v_mad_u64_u32 v[61:62], null, s9, v41, v[35:36]
	v_mov_b32_e32 v35, v60
	v_mov_b32_e32 v37, v61
	v_lshlrev_b64 v[34:35], 4, v[34:35]
	v_lshlrev_b64 v[36:37], 4, v[36:37]
	s_waitcnt vmcnt(4) lgkmcnt(5)
	v_mul_f64 v[38:39], v[66:67], v[2:3]
	v_mul_f64 v[42:43], v[66:67], v[0:1]
	s_clause 0x3
	buffer_load_dword v66, off, s[28:31], 0 offset:36
	buffer_load_dword v67, off, s[28:31], 0 offset:40
	;; [unrolled: 1-line block ×4, first 2 shown]
	ds_read_b128 v[26:29], v40 offset:8512
	s_clause 0x3
	buffer_load_dword v72, off, s[28:31], 0 offset:180
	buffer_load_dword v73, off, s[28:31], 0 offset:184
	;; [unrolled: 1-line block ×4, first 2 shown]
	ds_read_b128 v[30:33], v40 offset:2688
	s_waitcnt vmcnt(8) lgkmcnt(6)
	v_mul_f64 v[44:45], v[78:79], v[6:7]
	v_mul_f64 v[46:47], v[78:79], v[4:5]
	v_fma_f64 v[0:1], v[64:65], v[0:1], v[38:39]
	v_fma_f64 v[2:3], v[64:65], v[2:3], -v[42:43]
	v_add_co_u32 v43, s0, s6, v34
	s_mul_i32 s6, s8, 0xfffffe94
	v_fma_f64 v[4:5], v[76:77], v[4:5], v[44:45]
	v_fma_f64 v[6:7], v[76:77], v[6:7], -v[46:47]
	v_add_co_ci_u32_e64 v44, s0, s7, v35, s0
	v_add_co_u32 v36, s0, v43, v36
	v_add_co_ci_u32_e64 v37, s0, v44, v37, s0
	s_mul_hi_u32 s0, s8, 0xfffffe94
	s_sub_i32 s0, s0, s8
	s_add_i32 s7, s0, s1
	v_add_co_u32 v45, s0, v36, s4
	v_mul_f64 v[0:1], v[0:1], s[2:3]
	v_mul_f64 v[2:3], v[2:3], s[2:3]
	v_add_co_ci_u32_e64 v46, s0, s5, v37, s0
	s_lshl_b64 s[6:7], s[6:7], 4
	v_mul_f64 v[4:5], v[4:5], s[2:3]
	v_mul_f64 v[6:7], v[6:7], s[2:3]
	v_add_co_u32 v47, s0, v45, s6
	s_waitcnt vmcnt(4) lgkmcnt(5)
	v_mul_f64 v[48:49], v[68:69], v[10:11]
	v_mul_f64 v[50:51], v[68:69], v[8:9]
	s_clause 0x3
	buffer_load_dword v68, off, s[28:31], 0 offset:52
	buffer_load_dword v69, off, s[28:31], 0 offset:56
	;; [unrolled: 1-line block ×4, first 2 shown]
	s_waitcnt vmcnt(4) lgkmcnt(4)
	v_mul_f64 v[56:57], v[74:75], v[14:15]
	v_mul_f64 v[58:59], v[74:75], v[12:13]
	v_fma_f64 v[8:9], v[66:67], v[8:9], v[48:49]
	v_fma_f64 v[10:11], v[66:67], v[10:11], -v[50:51]
	s_clause 0x3
	buffer_load_dword v64, off, s[28:31], 0 offset:164
	buffer_load_dword v65, off, s[28:31], 0 offset:168
	;; [unrolled: 1-line block ×4, first 2 shown]
	v_fma_f64 v[12:13], v[72:73], v[12:13], v[56:57]
	v_fma_f64 v[14:15], v[72:73], v[14:15], -v[58:59]
	v_add_co_ci_u32_e64 v48, s0, s7, v46, s0
	v_mul_f64 v[8:9], v[8:9], s[2:3]
	v_mul_f64 v[10:11], v[10:11], s[2:3]
	;; [unrolled: 1-line block ×4, first 2 shown]
	s_waitcnt vmcnt(4) lgkmcnt(3)
	v_mul_f64 v[38:39], v[70:71], v[16:17]
	v_mul_f64 v[62:63], v[70:71], v[18:19]
	s_waitcnt vmcnt(0) lgkmcnt(1)
	v_mul_f64 v[41:42], v[66:67], v[28:29]
	v_mul_f64 v[34:35], v[66:67], v[26:27]
	v_fma_f64 v[38:39], v[68:69], v[18:19], -v[38:39]
	v_fma_f64 v[43:44], v[68:69], v[16:17], v[62:63]
	ds_read_b128 v[16:19], v40 offset:9408
	s_clause 0x3
	buffer_load_dword v60, off, s[28:31], 0 offset:132
	buffer_load_dword v61, off, s[28:31], 0 offset:136
	;; [unrolled: 1-line block ×4, first 2 shown]
	global_store_dwordx4 v[36:37], v[0:3], off
	ds_read_b128 v[0:3], v40 offset:3584
	v_fma_f64 v[41:42], v[64:65], v[26:27], v[41:42]
	v_fma_f64 v[49:50], v[64:65], v[28:29], -v[34:35]
	v_add_co_u32 v34, s0, v47, s4
	v_add_co_ci_u32_e64 v35, s0, s5, v48, s0
	global_store_dwordx4 v[45:46], v[4:7], off
	global_store_dwordx4 v[47:48], v[8:11], off
	;; [unrolled: 1-line block ×3, first 2 shown]
	v_mul_f64 v[6:7], v[38:39], s[2:3]
	v_add_co_u32 v38, s0, v34, s6
	v_mul_f64 v[4:5], v[43:44], s[2:3]
	ds_read_b128 v[8:11], v40 offset:10304
	s_clause 0x3
	buffer_load_dword v64, off, s[28:31], 0 offset:100
	buffer_load_dword v65, off, s[28:31], 0 offset:104
	;; [unrolled: 1-line block ×4, first 2 shown]
	ds_read_b128 v[12:15], v40 offset:4480
	ds_read_b128 v[26:29], v40 offset:11200
	v_add_co_ci_u32_e64 v39, s0, s7, v35, s0
	v_mul_f64 v[34:35], v[41:42], s[2:3]
	ds_read_b128 v[41:44], v40 offset:12096
	s_clause 0x7
	buffer_load_dword v74, off, s[28:31], 0 offset:68
	buffer_load_dword v75, off, s[28:31], 0 offset:72
	;; [unrolled: 1-line block ×8, first 2 shown]
	v_mul_f64 v[36:37], v[49:50], s[2:3]
	s_waitcnt lgkmcnt(0)
	v_mul_f64 v[72:73], v[54:55], v[43:44]
	v_mul_f64 v[54:55], v[54:55], v[41:42]
	v_fma_f64 v[41:42], v[52:53], v[41:42], v[72:73]
	v_fma_f64 v[43:44], v[52:53], v[43:44], -v[54:55]
	s_waitcnt vmcnt(12)
	v_mul_f64 v[56:57], v[62:63], v[32:33]
	v_mul_f64 v[58:59], v[62:63], v[30:31]
	v_fma_f64 v[30:31], v[60:61], v[30:31], v[56:57]
	v_fma_f64 v[32:33], v[60:61], v[32:33], -v[58:59]
	v_add_co_u32 v58, s0, v38, s4
	v_add_co_ci_u32_e64 v59, s0, s5, v39, s0
	s_waitcnt vmcnt(8)
	v_mul_f64 v[45:46], v[66:67], v[18:19]
	v_mul_f64 v[47:48], v[66:67], v[16:17]
	s_waitcnt vmcnt(4)
	v_mul_f64 v[49:50], v[76:77], v[2:3]
	v_mul_f64 v[56:57], v[76:77], v[0:1]
	;; [unrolled: 3-line block ×3, first 2 shown]
	s_clause 0x7
	buffer_load_dword v76, off, s[28:31], 0 offset:84
	buffer_load_dword v77, off, s[28:31], 0 offset:88
	;; [unrolled: 1-line block ×8, first 2 shown]
	v_fma_f64 v[16:17], v[64:65], v[16:17], v[45:46]
	v_fma_f64 v[18:19], v[64:65], v[18:19], -v[47:48]
	s_waitcnt vmcnt(4)
	v_mul_f64 v[45:46], v[78:79], v[14:15]
	s_waitcnt vmcnt(0)
	v_mul_f64 v[64:65], v[84:85], v[28:29]
	v_mul_f64 v[66:67], v[84:85], v[26:27]
	s_clause 0x3
	buffer_load_dword v84, off, s[28:31], 0 offset:212
	buffer_load_dword v85, off, s[28:31], 0 offset:216
	buffer_load_dword v86, off, s[28:31], 0 offset:220
	buffer_load_dword v87, off, s[28:31], 0 offset:224
	v_mul_f64 v[47:48], v[78:79], v[12:13]
	global_store_dwordx4 v[38:39], v[4:7], off
	global_store_dwordx4 v[58:59], v[34:37], off
	v_fma_f64 v[36:37], v[80:81], v[8:9], v[60:61]
	v_mul_f64 v[4:5], v[30:31], s[2:3]
	v_mul_f64 v[6:7], v[32:33], s[2:3]
	v_fma_f64 v[30:31], v[74:75], v[0:1], v[49:50]
	v_fma_f64 v[32:33], v[74:75], v[2:3], -v[56:57]
	v_fma_f64 v[38:39], v[80:81], v[10:11], -v[62:63]
	v_mul_f64 v[0:1], v[16:17], s[2:3]
	v_mul_f64 v[2:3], v[18:19], s[2:3]
	v_add_co_u32 v34, s0, v58, s6
	v_add_co_ci_u32_e64 v35, s0, s7, v59, s0
	v_add_co_u32 v49, s0, v34, s4
	v_add_co_ci_u32_e64 v50, s0, s5, v35, s0
	v_fma_f64 v[16:17], v[76:77], v[12:13], v[45:46]
	v_fma_f64 v[26:27], v[82:83], v[26:27], v[64:65]
	v_fma_f64 v[28:29], v[82:83], v[28:29], -v[66:67]
	v_fma_f64 v[18:19], v[76:77], v[14:15], -v[47:48]
	v_add_co_u32 v51, s0, v49, s6
	v_add_co_ci_u32_e64 v52, s0, s7, v50, s0
	v_mul_f64 v[12:13], v[36:37], s[2:3]
	v_add_co_u32 v36, s0, v51, s4
	v_add_co_ci_u32_e64 v37, s0, s5, v52, s0
	v_mul_f64 v[8:9], v[30:31], s[2:3]
	v_mul_f64 v[10:11], v[32:33], s[2:3]
	;; [unrolled: 1-line block ×3, first 2 shown]
	v_add_co_u32 v38, s0, v36, s6
	v_add_co_ci_u32_e64 v39, s0, s7, v37, s0
	v_mul_f64 v[30:31], v[41:42], s[2:3]
	v_mul_f64 v[32:33], v[43:44], s[2:3]
	;; [unrolled: 1-line block ×3, first 2 shown]
	global_store_dwordx4 v[34:35], v[4:7], off
	v_add_co_u32 v4, s0, v38, s4
	v_mul_f64 v[18:19], v[18:19], s[2:3]
	v_add_co_ci_u32_e64 v5, s0, s5, v39, s0
	global_store_dwordx4 v[49:50], v[0:3], off
	v_add_co_u32 v2, s0, v4, s6
	v_add_co_ci_u32_e64 v3, s0, s7, v5, s0
	v_add_co_u32 v0, s0, v2, s4
	v_add_co_ci_u32_e64 v1, s0, s5, v3, s0
	global_store_dwordx4 v[51:52], v[8:11], off
	s_waitcnt vmcnt(0)
	v_mul_f64 v[68:69], v[86:87], v[24:25]
	v_mul_f64 v[70:71], v[86:87], v[22:23]
	v_fma_f64 v[45:46], v[84:85], v[22:23], v[68:69]
	v_fma_f64 v[47:48], v[84:85], v[24:25], -v[70:71]
	v_mul_f64 v[22:23], v[26:27], s[2:3]
	v_mul_f64 v[24:25], v[28:29], s[2:3]
	;; [unrolled: 1-line block ×4, first 2 shown]
	global_store_dwordx4 v[36:37], v[12:15], off
	global_store_dwordx4 v[38:39], v[16:19], off
	;; [unrolled: 1-line block ×5, first 2 shown]
	s_and_b32 exec_lo, exec_lo, vcc_lo
	s_cbranch_execz .LBB0_39
; %bb.38:
	s_clause 0x1
	buffer_load_dword v2, off, s[28:31], 0 offset:12
	buffer_load_dword v3, off, s[28:31], 0 offset:16
	s_waitcnt vmcnt(0)
	global_load_dwordx4 v[2:5], v[2:3], off offset:128
	ds_read_b128 v[6:9], v40 offset:6272
	ds_read_b128 v[10:13], v40 offset:12992
	s_waitcnt vmcnt(0) lgkmcnt(1)
	v_mul_f64 v[14:15], v[8:9], v[4:5]
	v_mul_f64 v[4:5], v[6:7], v[4:5]
	v_fma_f64 v[6:7], v[6:7], v[2:3], v[14:15]
	v_fma_f64 v[4:5], v[2:3], v[8:9], -v[4:5]
	v_mul_f64 v[2:3], v[6:7], s[2:3]
	v_mul_f64 v[4:5], v[4:5], s[2:3]
	v_add_co_u32 v6, vcc_lo, v0, s6
	v_add_co_ci_u32_e32 v7, vcc_lo, s7, v1, vcc_lo
	global_store_dwordx4 v[6:7], v[2:5], off
	global_load_dwordx4 v[0:3], v[20:21], off offset:704
	s_waitcnt vmcnt(0) lgkmcnt(0)
	v_mul_f64 v[4:5], v[12:13], v[2:3]
	v_mul_f64 v[2:3], v[10:11], v[2:3]
	v_fma_f64 v[4:5], v[10:11], v[0:1], v[4:5]
	v_fma_f64 v[2:3], v[0:1], v[12:13], -v[2:3]
	v_mul_f64 v[0:1], v[4:5], s[2:3]
	v_mul_f64 v[2:3], v[2:3], s[2:3]
	v_add_co_u32 v4, vcc_lo, v6, s4
	v_add_co_ci_u32_e32 v5, vcc_lo, s5, v7, vcc_lo
	global_store_dwordx4 v[4:5], v[0:3], off
.LBB0_39:
	s_endpgm
	.section	.rodata,"a",@progbits
	.p2align	6, 0x0
	.amdhsa_kernel bluestein_single_back_len840_dim1_dp_op_CI_CI
		.amdhsa_group_segment_fixed_size 13440
		.amdhsa_private_segment_fixed_size 332
		.amdhsa_kernarg_size 104
		.amdhsa_user_sgpr_count 6
		.amdhsa_user_sgpr_private_segment_buffer 1
		.amdhsa_user_sgpr_dispatch_ptr 0
		.amdhsa_user_sgpr_queue_ptr 0
		.amdhsa_user_sgpr_kernarg_segment_ptr 1
		.amdhsa_user_sgpr_dispatch_id 0
		.amdhsa_user_sgpr_flat_scratch_init 0
		.amdhsa_user_sgpr_private_segment_size 0
		.amdhsa_wavefront_size32 1
		.amdhsa_uses_dynamic_stack 0
		.amdhsa_system_sgpr_private_segment_wavefront_offset 1
		.amdhsa_system_sgpr_workgroup_id_x 1
		.amdhsa_system_sgpr_workgroup_id_y 0
		.amdhsa_system_sgpr_workgroup_id_z 0
		.amdhsa_system_sgpr_workgroup_info 0
		.amdhsa_system_vgpr_workitem_id 0
		.amdhsa_next_free_vgpr 256
		.amdhsa_next_free_sgpr 32
		.amdhsa_reserve_vcc 1
		.amdhsa_reserve_flat_scratch 0
		.amdhsa_float_round_mode_32 0
		.amdhsa_float_round_mode_16_64 0
		.amdhsa_float_denorm_mode_32 3
		.amdhsa_float_denorm_mode_16_64 3
		.amdhsa_dx10_clamp 1
		.amdhsa_ieee_mode 1
		.amdhsa_fp16_overflow 0
		.amdhsa_workgroup_processor_mode 1
		.amdhsa_memory_ordered 1
		.amdhsa_forward_progress 0
		.amdhsa_shared_vgpr_count 0
		.amdhsa_exception_fp_ieee_invalid_op 0
		.amdhsa_exception_fp_denorm_src 0
		.amdhsa_exception_fp_ieee_div_zero 0
		.amdhsa_exception_fp_ieee_overflow 0
		.amdhsa_exception_fp_ieee_underflow 0
		.amdhsa_exception_fp_ieee_inexact 0
		.amdhsa_exception_int_div_zero 0
	.end_amdhsa_kernel
	.text
.Lfunc_end0:
	.size	bluestein_single_back_len840_dim1_dp_op_CI_CI, .Lfunc_end0-bluestein_single_back_len840_dim1_dp_op_CI_CI
                                        ; -- End function
	.section	.AMDGPU.csdata,"",@progbits
; Kernel info:
; codeLenInByte = 24360
; NumSgprs: 34
; NumVgprs: 256
; ScratchSize: 332
; MemoryBound: 0
; FloatMode: 240
; IeeeMode: 1
; LDSByteSize: 13440 bytes/workgroup (compile time only)
; SGPRBlocks: 4
; VGPRBlocks: 31
; NumSGPRsForWavesPerEU: 34
; NumVGPRsForWavesPerEU: 256
; Occupancy: 4
; WaveLimiterHint : 1
; COMPUTE_PGM_RSRC2:SCRATCH_EN: 1
; COMPUTE_PGM_RSRC2:USER_SGPR: 6
; COMPUTE_PGM_RSRC2:TRAP_HANDLER: 0
; COMPUTE_PGM_RSRC2:TGID_X_EN: 1
; COMPUTE_PGM_RSRC2:TGID_Y_EN: 0
; COMPUTE_PGM_RSRC2:TGID_Z_EN: 0
; COMPUTE_PGM_RSRC2:TIDIG_COMP_CNT: 0
	.text
	.p2alignl 6, 3214868480
	.fill 48, 4, 3214868480
	.type	__hip_cuid_c622937f4c179fcf,@object ; @__hip_cuid_c622937f4c179fcf
	.section	.bss,"aw",@nobits
	.globl	__hip_cuid_c622937f4c179fcf
__hip_cuid_c622937f4c179fcf:
	.byte	0                               ; 0x0
	.size	__hip_cuid_c622937f4c179fcf, 1

	.ident	"AMD clang version 19.0.0git (https://github.com/RadeonOpenCompute/llvm-project roc-6.4.0 25133 c7fe45cf4b819c5991fe208aaa96edf142730f1d)"
	.section	".note.GNU-stack","",@progbits
	.addrsig
	.addrsig_sym __hip_cuid_c622937f4c179fcf
	.amdgpu_metadata
---
amdhsa.kernels:
  - .args:
      - .actual_access:  read_only
        .address_space:  global
        .offset:         0
        .size:           8
        .value_kind:     global_buffer
      - .actual_access:  read_only
        .address_space:  global
        .offset:         8
        .size:           8
        .value_kind:     global_buffer
      - .actual_access:  read_only
        .address_space:  global
        .offset:         16
        .size:           8
        .value_kind:     global_buffer
      - .actual_access:  read_only
        .address_space:  global
        .offset:         24
        .size:           8
        .value_kind:     global_buffer
      - .actual_access:  read_only
        .address_space:  global
        .offset:         32
        .size:           8
        .value_kind:     global_buffer
      - .offset:         40
        .size:           8
        .value_kind:     by_value
      - .address_space:  global
        .offset:         48
        .size:           8
        .value_kind:     global_buffer
      - .address_space:  global
        .offset:         56
        .size:           8
        .value_kind:     global_buffer
      - .address_space:  global
        .offset:         64
        .size:           8
        .value_kind:     global_buffer
      - .address_space:  global
        .offset:         72
        .size:           8
        .value_kind:     global_buffer
      - .offset:         80
        .size:           4
        .value_kind:     by_value
      - .address_space:  global
        .offset:         88
        .size:           8
        .value_kind:     global_buffer
      - .address_space:  global
        .offset:         96
        .size:           8
        .value_kind:     global_buffer
    .group_segment_fixed_size: 13440
    .kernarg_segment_align: 8
    .kernarg_segment_size: 104
    .language:       OpenCL C
    .language_version:
      - 2
      - 0
    .max_flat_workgroup_size: 56
    .name:           bluestein_single_back_len840_dim1_dp_op_CI_CI
    .private_segment_fixed_size: 332
    .sgpr_count:     34
    .sgpr_spill_count: 0
    .symbol:         bluestein_single_back_len840_dim1_dp_op_CI_CI.kd
    .uniform_work_group_size: 1
    .uses_dynamic_stack: false
    .vgpr_count:     256
    .vgpr_spill_count: 82
    .wavefront_size: 32
    .workgroup_processor_mode: 1
amdhsa.target:   amdgcn-amd-amdhsa--gfx1030
amdhsa.version:
  - 1
  - 2
...

	.end_amdgpu_metadata
